;; amdgpu-corpus repo=ROCm/rocFFT kind=compiled arch=gfx1201 opt=O3
	.text
	.amdgcn_target "amdgcn-amd-amdhsa--gfx1201"
	.amdhsa_code_object_version 6
	.protected	fft_rtc_back_len2028_factors_13_4_3_13_wgs_156_tpt_156_dp_ip_CI_sbrr_dirReg ; -- Begin function fft_rtc_back_len2028_factors_13_4_3_13_wgs_156_tpt_156_dp_ip_CI_sbrr_dirReg
	.globl	fft_rtc_back_len2028_factors_13_4_3_13_wgs_156_tpt_156_dp_ip_CI_sbrr_dirReg
	.p2align	8
	.type	fft_rtc_back_len2028_factors_13_4_3_13_wgs_156_tpt_156_dp_ip_CI_sbrr_dirReg,@function
fft_rtc_back_len2028_factors_13_4_3_13_wgs_156_tpt_156_dp_ip_CI_sbrr_dirReg: ; @fft_rtc_back_len2028_factors_13_4_3_13_wgs_156_tpt_156_dp_ip_CI_sbrr_dirReg
; %bb.0:
	s_clause 0x2
	s_load_b64 s[12:13], s[0:1], 0x18
	s_load_b128 s[4:7], s[0:1], 0x0
	s_load_b64 s[10:11], s[0:1], 0x50
	v_mul_u32_u24_e32 v1, 0x1a5, v0
	v_mov_b32_e32 v3, 0
	s_delay_alu instid0(VALU_DEP_2) | instskip(NEXT) | instid1(VALU_DEP_1)
	v_lshrrev_b32_e32 v1, 16, v1
	v_add_nc_u32_e32 v5, ttmp9, v1
	v_mov_b32_e32 v1, 0
	v_mov_b32_e32 v2, 0
	;; [unrolled: 1-line block ×3, first 2 shown]
	s_wait_kmcnt 0x0
	s_load_b64 s[8:9], s[12:13], 0x0
	v_cmp_lt_u64_e64 s2, s[6:7], 2
	s_delay_alu instid0(VALU_DEP_1)
	s_and_b32 vcc_lo, exec_lo, s2
	s_cbranch_vccnz .LBB0_8
; %bb.1:
	s_load_b64 s[2:3], s[0:1], 0x10
	v_mov_b32_e32 v1, 0
	v_mov_b32_e32 v2, 0
	s_add_nc_u64 s[14:15], s[12:13], 8
	s_mov_b64 s[16:17], 1
	s_wait_kmcnt 0x0
	s_add_nc_u64 s[18:19], s[2:3], 8
	s_mov_b32 s3, 0
.LBB0_2:                                ; =>This Inner Loop Header: Depth=1
	s_load_b64 s[20:21], s[18:19], 0x0
                                        ; implicit-def: $vgpr7_vgpr8
	s_mov_b32 s2, exec_lo
	s_wait_kmcnt 0x0
	v_or_b32_e32 v4, s21, v6
	s_delay_alu instid0(VALU_DEP_1)
	v_cmpx_ne_u64_e32 0, v[3:4]
	s_wait_alu 0xfffe
	s_xor_b32 s22, exec_lo, s2
	s_cbranch_execz .LBB0_4
; %bb.3:                                ;   in Loop: Header=BB0_2 Depth=1
	s_cvt_f32_u32 s2, s20
	s_cvt_f32_u32 s23, s21
	s_sub_nc_u64 s[26:27], 0, s[20:21]
	s_wait_alu 0xfffe
	s_delay_alu instid0(SALU_CYCLE_1) | instskip(SKIP_1) | instid1(SALU_CYCLE_2)
	s_fmamk_f32 s2, s23, 0x4f800000, s2
	s_wait_alu 0xfffe
	v_s_rcp_f32 s2, s2
	s_delay_alu instid0(TRANS32_DEP_1) | instskip(SKIP_1) | instid1(SALU_CYCLE_2)
	s_mul_f32 s2, s2, 0x5f7ffffc
	s_wait_alu 0xfffe
	s_mul_f32 s23, s2, 0x2f800000
	s_wait_alu 0xfffe
	s_delay_alu instid0(SALU_CYCLE_2) | instskip(SKIP_1) | instid1(SALU_CYCLE_2)
	s_trunc_f32 s23, s23
	s_wait_alu 0xfffe
	s_fmamk_f32 s2, s23, 0xcf800000, s2
	s_cvt_u32_f32 s25, s23
	s_wait_alu 0xfffe
	s_delay_alu instid0(SALU_CYCLE_1) | instskip(SKIP_1) | instid1(SALU_CYCLE_2)
	s_cvt_u32_f32 s24, s2
	s_wait_alu 0xfffe
	s_mul_u64 s[28:29], s[26:27], s[24:25]
	s_wait_alu 0xfffe
	s_mul_hi_u32 s31, s24, s29
	s_mul_i32 s30, s24, s29
	s_mul_hi_u32 s2, s24, s28
	s_mul_i32 s33, s25, s28
	s_wait_alu 0xfffe
	s_add_nc_u64 s[30:31], s[2:3], s[30:31]
	s_mul_hi_u32 s23, s25, s28
	s_mul_hi_u32 s34, s25, s29
	s_add_co_u32 s2, s30, s33
	s_wait_alu 0xfffe
	s_add_co_ci_u32 s2, s31, s23
	s_mul_i32 s28, s25, s29
	s_add_co_ci_u32 s29, s34, 0
	s_wait_alu 0xfffe
	s_add_nc_u64 s[28:29], s[2:3], s[28:29]
	s_wait_alu 0xfffe
	v_add_co_u32 v4, s2, s24, s28
	s_delay_alu instid0(VALU_DEP_1) | instskip(SKIP_1) | instid1(VALU_DEP_1)
	s_cmp_lg_u32 s2, 0
	s_add_co_ci_u32 s25, s25, s29
	v_readfirstlane_b32 s24, v4
	s_wait_alu 0xfffe
	s_delay_alu instid0(VALU_DEP_1)
	s_mul_u64 s[26:27], s[26:27], s[24:25]
	s_wait_alu 0xfffe
	s_mul_hi_u32 s29, s24, s27
	s_mul_i32 s28, s24, s27
	s_mul_hi_u32 s2, s24, s26
	s_mul_i32 s30, s25, s26
	s_wait_alu 0xfffe
	s_add_nc_u64 s[28:29], s[2:3], s[28:29]
	s_mul_hi_u32 s23, s25, s26
	s_mul_hi_u32 s24, s25, s27
	s_wait_alu 0xfffe
	s_add_co_u32 s2, s28, s30
	s_add_co_ci_u32 s2, s29, s23
	s_mul_i32 s26, s25, s27
	s_add_co_ci_u32 s27, s24, 0
	s_wait_alu 0xfffe
	s_add_nc_u64 s[26:27], s[2:3], s[26:27]
	s_wait_alu 0xfffe
	v_add_co_u32 v4, s2, v4, s26
	s_delay_alu instid0(VALU_DEP_1) | instskip(SKIP_1) | instid1(VALU_DEP_1)
	s_cmp_lg_u32 s2, 0
	s_add_co_ci_u32 s2, s25, s27
	v_mul_hi_u32 v13, v5, v4
	s_wait_alu 0xfffe
	v_mad_co_u64_u32 v[7:8], null, v5, s2, 0
	v_mad_co_u64_u32 v[9:10], null, v6, v4, 0
	;; [unrolled: 1-line block ×3, first 2 shown]
	s_delay_alu instid0(VALU_DEP_3) | instskip(SKIP_1) | instid1(VALU_DEP_4)
	v_add_co_u32 v4, vcc_lo, v13, v7
	s_wait_alu 0xfffd
	v_add_co_ci_u32_e32 v7, vcc_lo, 0, v8, vcc_lo
	s_delay_alu instid0(VALU_DEP_2) | instskip(SKIP_1) | instid1(VALU_DEP_2)
	v_add_co_u32 v4, vcc_lo, v4, v9
	s_wait_alu 0xfffd
	v_add_co_ci_u32_e32 v4, vcc_lo, v7, v10, vcc_lo
	s_wait_alu 0xfffd
	v_add_co_ci_u32_e32 v7, vcc_lo, 0, v12, vcc_lo
	s_delay_alu instid0(VALU_DEP_2) | instskip(SKIP_1) | instid1(VALU_DEP_2)
	v_add_co_u32 v4, vcc_lo, v4, v11
	s_wait_alu 0xfffd
	v_add_co_ci_u32_e32 v9, vcc_lo, 0, v7, vcc_lo
	s_delay_alu instid0(VALU_DEP_2) | instskip(SKIP_1) | instid1(VALU_DEP_3)
	v_mul_lo_u32 v10, s21, v4
	v_mad_co_u64_u32 v[7:8], null, s20, v4, 0
	v_mul_lo_u32 v11, s20, v9
	s_delay_alu instid0(VALU_DEP_2) | instskip(NEXT) | instid1(VALU_DEP_2)
	v_sub_co_u32 v7, vcc_lo, v5, v7
	v_add3_u32 v8, v8, v11, v10
	s_delay_alu instid0(VALU_DEP_1) | instskip(SKIP_1) | instid1(VALU_DEP_1)
	v_sub_nc_u32_e32 v10, v6, v8
	s_wait_alu 0xfffd
	v_subrev_co_ci_u32_e64 v10, s2, s21, v10, vcc_lo
	v_add_co_u32 v11, s2, v4, 2
	s_wait_alu 0xf1ff
	v_add_co_ci_u32_e64 v12, s2, 0, v9, s2
	v_sub_co_u32 v13, s2, v7, s20
	v_sub_co_ci_u32_e32 v8, vcc_lo, v6, v8, vcc_lo
	s_wait_alu 0xf1ff
	v_subrev_co_ci_u32_e64 v10, s2, 0, v10, s2
	s_delay_alu instid0(VALU_DEP_3) | instskip(NEXT) | instid1(VALU_DEP_3)
	v_cmp_le_u32_e32 vcc_lo, s20, v13
	v_cmp_eq_u32_e64 s2, s21, v8
	s_wait_alu 0xfffd
	v_cndmask_b32_e64 v13, 0, -1, vcc_lo
	v_cmp_le_u32_e32 vcc_lo, s21, v10
	s_wait_alu 0xfffd
	v_cndmask_b32_e64 v14, 0, -1, vcc_lo
	v_cmp_le_u32_e32 vcc_lo, s20, v7
	;; [unrolled: 3-line block ×3, first 2 shown]
	s_wait_alu 0xfffd
	v_cndmask_b32_e64 v15, 0, -1, vcc_lo
	v_cmp_eq_u32_e32 vcc_lo, s21, v10
	s_wait_alu 0xf1ff
	s_delay_alu instid0(VALU_DEP_2)
	v_cndmask_b32_e64 v7, v15, v7, s2
	s_wait_alu 0xfffd
	v_cndmask_b32_e32 v10, v14, v13, vcc_lo
	v_add_co_u32 v13, vcc_lo, v4, 1
	s_wait_alu 0xfffd
	v_add_co_ci_u32_e32 v14, vcc_lo, 0, v9, vcc_lo
	s_delay_alu instid0(VALU_DEP_3) | instskip(SKIP_2) | instid1(VALU_DEP_3)
	v_cmp_ne_u32_e32 vcc_lo, 0, v10
	s_wait_alu 0xfffd
	v_cndmask_b32_e32 v10, v13, v11, vcc_lo
	v_cndmask_b32_e32 v8, v14, v12, vcc_lo
	v_cmp_ne_u32_e32 vcc_lo, 0, v7
	s_wait_alu 0xfffd
	s_delay_alu instid0(VALU_DEP_2)
	v_dual_cndmask_b32 v7, v4, v10 :: v_dual_cndmask_b32 v8, v9, v8
.LBB0_4:                                ;   in Loop: Header=BB0_2 Depth=1
	s_wait_alu 0xfffe
	s_and_not1_saveexec_b32 s2, s22
	s_cbranch_execz .LBB0_6
; %bb.5:                                ;   in Loop: Header=BB0_2 Depth=1
	v_cvt_f32_u32_e32 v4, s20
	s_sub_co_i32 s22, 0, s20
	s_delay_alu instid0(VALU_DEP_1) | instskip(NEXT) | instid1(TRANS32_DEP_1)
	v_rcp_iflag_f32_e32 v4, v4
	v_mul_f32_e32 v4, 0x4f7ffffe, v4
	s_delay_alu instid0(VALU_DEP_1) | instskip(SKIP_1) | instid1(VALU_DEP_1)
	v_cvt_u32_f32_e32 v4, v4
	s_wait_alu 0xfffe
	v_mul_lo_u32 v7, s22, v4
	s_delay_alu instid0(VALU_DEP_1) | instskip(NEXT) | instid1(VALU_DEP_1)
	v_mul_hi_u32 v7, v4, v7
	v_add_nc_u32_e32 v4, v4, v7
	s_delay_alu instid0(VALU_DEP_1) | instskip(NEXT) | instid1(VALU_DEP_1)
	v_mul_hi_u32 v4, v5, v4
	v_mul_lo_u32 v7, v4, s20
	v_add_nc_u32_e32 v8, 1, v4
	s_delay_alu instid0(VALU_DEP_2) | instskip(NEXT) | instid1(VALU_DEP_1)
	v_sub_nc_u32_e32 v7, v5, v7
	v_subrev_nc_u32_e32 v9, s20, v7
	v_cmp_le_u32_e32 vcc_lo, s20, v7
	s_wait_alu 0xfffd
	s_delay_alu instid0(VALU_DEP_2) | instskip(NEXT) | instid1(VALU_DEP_1)
	v_dual_cndmask_b32 v7, v7, v9 :: v_dual_cndmask_b32 v4, v4, v8
	v_cmp_le_u32_e32 vcc_lo, s20, v7
	s_delay_alu instid0(VALU_DEP_2) | instskip(SKIP_1) | instid1(VALU_DEP_1)
	v_add_nc_u32_e32 v8, 1, v4
	s_wait_alu 0xfffd
	v_dual_cndmask_b32 v7, v4, v8 :: v_dual_mov_b32 v8, v3
.LBB0_6:                                ;   in Loop: Header=BB0_2 Depth=1
	s_wait_alu 0xfffe
	s_or_b32 exec_lo, exec_lo, s2
	s_load_b64 s[22:23], s[14:15], 0x0
	s_delay_alu instid0(VALU_DEP_1)
	v_mul_lo_u32 v4, v8, s20
	v_mul_lo_u32 v11, v7, s21
	v_mad_co_u64_u32 v[9:10], null, v7, s20, 0
	s_add_nc_u64 s[16:17], s[16:17], 1
	s_add_nc_u64 s[14:15], s[14:15], 8
	s_wait_alu 0xfffe
	v_cmp_ge_u64_e64 s2, s[16:17], s[6:7]
	s_add_nc_u64 s[18:19], s[18:19], 8
	s_delay_alu instid0(VALU_DEP_2) | instskip(NEXT) | instid1(VALU_DEP_3)
	v_add3_u32 v4, v10, v11, v4
	v_sub_co_u32 v5, vcc_lo, v5, v9
	s_wait_alu 0xfffd
	s_delay_alu instid0(VALU_DEP_2) | instskip(SKIP_3) | instid1(VALU_DEP_2)
	v_sub_co_ci_u32_e32 v4, vcc_lo, v6, v4, vcc_lo
	s_and_b32 vcc_lo, exec_lo, s2
	s_wait_kmcnt 0x0
	v_mul_lo_u32 v6, s23, v5
	v_mul_lo_u32 v4, s22, v4
	v_mad_co_u64_u32 v[1:2], null, s22, v5, v[1:2]
	s_delay_alu instid0(VALU_DEP_1)
	v_add3_u32 v2, v6, v2, v4
	s_wait_alu 0xfffe
	s_cbranch_vccnz .LBB0_9
; %bb.7:                                ;   in Loop: Header=BB0_2 Depth=1
	v_dual_mov_b32 v5, v7 :: v_dual_mov_b32 v6, v8
	s_branch .LBB0_2
.LBB0_8:
	v_dual_mov_b32 v8, v6 :: v_dual_mov_b32 v7, v5
.LBB0_9:
	s_lshl_b64 s[2:3], s[6:7], 3
	v_mul_hi_u32 v3, 0x1a41a42, v0
	s_wait_alu 0xfffe
	s_add_nc_u64 s[2:3], s[12:13], s[2:3]
	s_load_b64 s[0:1], s[0:1], 0x20
	s_load_b64 s[2:3], s[2:3], 0x0
	s_delay_alu instid0(VALU_DEP_1) | instskip(NEXT) | instid1(VALU_DEP_1)
	v_mul_u32_u24_e32 v3, 0x9c, v3
	v_sub_nc_u32_e32 v91, v0, v3
	s_delay_alu instid0(VALU_DEP_1)
	v_add_nc_u32_e32 v94, 0x9c, v91
	v_add_nc_u32_e32 v93, 0x138, v91
	;; [unrolled: 1-line block ×3, first 2 shown]
	s_wait_kmcnt 0x0
	v_cmp_gt_u64_e32 vcc_lo, s[0:1], v[7:8]
	v_mul_lo_u32 v3, s2, v8
	v_mul_lo_u32 v4, s3, v7
	v_mad_co_u64_u32 v[0:1], null, s2, v7, v[1:2]
	v_cmp_le_u64_e64 s0, s[0:1], v[7:8]
                                        ; implicit-def: $sgpr2
	s_delay_alu instid0(VALU_DEP_2) | instskip(NEXT) | instid1(VALU_DEP_2)
	v_add3_u32 v1, v4, v1, v3
	s_and_saveexec_b32 s1, s0
	s_wait_alu 0xfffe
	s_xor_b32 s0, exec_lo, s1
; %bb.10:
	v_add_nc_u32_e32 v94, 0x9c, v91
	v_add_nc_u32_e32 v93, 0x138, v91
	;; [unrolled: 1-line block ×3, first 2 shown]
	s_mov_b32 s2, 0
; %bb.11:
	s_wait_alu 0xfffe
	s_or_saveexec_b32 s1, s0
	v_lshlrev_b64_e32 v[64:65], 4, v[0:1]
	v_mov_b32_e32 v90, s2
	v_add_nc_u32_e32 v92, 0x270, v91
                                        ; implicit-def: $vgpr50_vgpr51
                                        ; implicit-def: $vgpr46_vgpr47
                                        ; implicit-def: $vgpr34_vgpr35
                                        ; implicit-def: $vgpr30_vgpr31
                                        ; implicit-def: $vgpr18_vgpr19
                                        ; implicit-def: $vgpr14_vgpr15
                                        ; implicit-def: $vgpr6_vgpr7
                                        ; implicit-def: $vgpr10_vgpr11
                                        ; implicit-def: $vgpr22_vgpr23
                                        ; implicit-def: $vgpr26_vgpr27
                                        ; implicit-def: $vgpr38_vgpr39
                                        ; implicit-def: $vgpr42_vgpr43
                                        ; implicit-def: $vgpr2_vgpr3
	s_wait_alu 0xfffe
	s_xor_b32 exec_lo, exec_lo, s1
	s_cbranch_execz .LBB0_13
; %bb.12:
	v_mad_co_u64_u32 v[0:1], null, s8, v91, 0
	v_mad_co_u64_u32 v[2:3], null, s8, v94, 0
	v_add_co_u32 v21, s0, s10, v64
	s_wait_alu 0xf1ff
	v_add_co_ci_u32_e64 v22, s0, s11, v65, s0
	v_dual_mov_b32 v90, v91 :: v_dual_add_nc_u32 v17, 0x30c, v91
	s_delay_alu instid0(VALU_DEP_4) | instskip(SKIP_2) | instid1(VALU_DEP_3)
	v_mad_co_u64_u32 v[4:5], null, s9, v91, v[1:2]
	v_mad_co_u64_u32 v[5:6], null, s8, v93, 0
	v_add_nc_u32_e32 v53, 0x750, v91
	v_mad_co_u64_u32 v[7:8], null, s9, v94, v[3:4]
	v_mad_co_u64_u32 v[8:9], null, s8, v95, 0
	s_delay_alu instid0(VALU_DEP_4) | instskip(NEXT) | instid1(VALU_DEP_3)
	v_dual_mov_b32 v1, v4 :: v_dual_mov_b32 v4, v6
	v_mov_b32_e32 v3, v7
	s_delay_alu instid0(VALU_DEP_2) | instskip(NEXT) | instid1(VALU_DEP_4)
	v_lshlrev_b64_e32 v[0:1], 4, v[0:1]
	v_mov_b32_e32 v6, v9
	s_delay_alu instid0(VALU_DEP_4) | instskip(NEXT) | instid1(VALU_DEP_4)
	v_mad_co_u64_u32 v[9:10], null, s9, v93, v[4:5]
	v_lshlrev_b64_e32 v[2:3], 4, v[2:3]
	s_delay_alu instid0(VALU_DEP_3)
	v_mad_co_u64_u32 v[12:13], null, s9, v95, v[6:7]
	v_add_co_u32 v0, s0, v21, v0
	s_wait_alu 0xf1ff
	v_add_co_ci_u32_e64 v1, s0, v22, v1, s0
	v_mad_co_u64_u32 v[13:14], null, s8, v92, 0
	v_add_co_u32 v10, s0, v21, v2
	v_mov_b32_e32 v6, v9
	s_wait_alu 0xf1ff
	v_add_co_ci_u32_e64 v11, s0, v22, v3, s0
	v_mov_b32_e32 v9, v12
	s_clause 0x1
	global_load_b128 v[0:3], v[0:1], off
	global_load_b128 v[48:51], v[10:11], off
	v_mad_co_u64_u32 v[10:11], null, s8, v17, 0
	v_lshlrev_b64_e32 v[4:5], 4, v[5:6]
	v_mov_b32_e32 v6, v14
	v_lshlrev_b64_e32 v[7:8], 4, v[8:9]
	v_add_nc_u32_e32 v9, 0x3a8, v91
	s_delay_alu instid0(VALU_DEP_4) | instskip(NEXT) | instid1(VALU_DEP_3)
	v_add_co_u32 v4, s0, v21, v4
	v_mad_co_u64_u32 v[14:15], null, s9, v92, v[6:7]
	v_mov_b32_e32 v6, v11
	s_delay_alu instid0(VALU_DEP_4)
	v_mad_co_u64_u32 v[15:16], null, s8, v9, 0
	s_wait_alu 0xf1ff
	v_add_co_ci_u32_e64 v5, s0, v22, v5, s0
	v_add_co_u32 v7, s0, v21, v7
	v_add_nc_u32_e32 v19, 0x444, v91
	s_wait_alu 0xf1ff
	v_add_co_ci_u32_e64 v8, s0, v22, v8, s0
	s_delay_alu instid0(VALU_DEP_3)
	v_mad_co_u64_u32 v[11:12], null, s9, v17, v[6:7]
	v_mov_b32_e32 v6, v16
	v_mad_co_u64_u32 v[17:18], null, s8, v19, 0
	s_clause 0x1
	global_load_b128 v[44:47], v[4:5], off
	global_load_b128 v[40:43], v[7:8], off
	v_lshlrev_b64_e32 v[4:5], 4, v[13:14]
	v_mad_co_u64_u32 v[6:7], null, s9, v9, v[6:7]
	v_lshlrev_b64_e32 v[8:9], 4, v[10:11]
	v_mov_b32_e32 v7, v18
	s_delay_alu instid0(VALU_DEP_4)
	v_add_co_u32 v4, s0, v21, v4
	s_wait_alu 0xf1ff
	v_add_co_ci_u32_e64 v5, s0, v22, v5, s0
	v_mov_b32_e32 v16, v6
	v_mad_co_u64_u32 v[6:7], null, s9, v19, v[7:8]
	v_add_nc_u32_e32 v13, 0x4e0, v91
	v_add_co_u32 v7, s0, v21, v8
	s_wait_alu 0xf1ff
	v_add_co_ci_u32_e64 v8, s0, v22, v9, s0
	v_lshlrev_b64_e32 v[9:10], 4, v[15:16]
	v_mov_b32_e32 v18, v6
	v_mad_co_u64_u32 v[11:12], null, s8, v13, 0
	s_clause 0x1
	global_load_b128 v[36:39], v[4:5], off
	global_load_b128 v[32:35], v[7:8], off
	v_add_nc_u32_e32 v19, 0x57c, v91
	v_lshlrev_b64_e32 v[7:8], 4, v[17:18]
	v_add_co_u32 v4, s0, v21, v9
	s_wait_alu 0xf1ff
	v_add_co_ci_u32_e64 v5, s0, v22, v10, s0
	v_mov_b32_e32 v6, v12
	s_delay_alu instid0(VALU_DEP_1)
	v_mad_co_u64_u32 v[9:10], null, s9, v13, v[6:7]
	v_add_nc_u32_e32 v23, 0x618, v91
	v_mad_co_u64_u32 v[13:14], null, s8, v19, 0
	v_add_co_u32 v6, s0, v21, v7
	s_wait_alu 0xf1ff
	v_add_co_ci_u32_e64 v7, s0, v22, v8, s0
	v_mov_b32_e32 v12, v9
	v_mad_co_u64_u32 v[15:16], null, s8, v23, 0
	v_add_nc_u32_e32 v52, 0x6b4, v91
	v_mov_b32_e32 v8, v14
	s_clause 0x1
	global_load_b128 v[28:31], v[4:5], off
	global_load_b128 v[24:27], v[6:7], off
	v_lshlrev_b64_e32 v[5:6], 4, v[11:12]
	v_mov_b32_e32 v9, v16
	v_mad_co_u64_u32 v[17:18], null, s8, v52, 0
	s_delay_alu instid0(VALU_DEP_2) | instskip(SKIP_2) | instid1(VALU_DEP_4)
	v_mad_co_u64_u32 v[19:20], null, s9, v19, v[8:9]
	v_mad_co_u64_u32 v[8:9], null, s9, v23, v[9:10]
	v_mad_co_u64_u32 v[9:10], null, s8, v53, 0
	v_mov_b32_e32 v4, v18
	s_delay_alu instid0(VALU_DEP_4) | instskip(NEXT) | instid1(VALU_DEP_4)
	v_mov_b32_e32 v14, v19
	v_mov_b32_e32 v16, v8
	s_delay_alu instid0(VALU_DEP_3)
	v_mad_co_u64_u32 v[7:8], null, s9, v52, v[4:5]
	v_mov_b32_e32 v4, v10
	v_add_co_u32 v5, s0, v21, v5
	v_lshlrev_b64_e32 v[10:11], 4, v[13:14]
	s_wait_alu 0xf1ff
	v_add_co_ci_u32_e64 v6, s0, v22, v6, s0
	s_delay_alu instid0(VALU_DEP_3)
	v_mad_co_u64_u32 v[12:13], null, s9, v53, v[4:5]
	v_mov_b32_e32 v18, v7
	v_lshlrev_b64_e32 v[13:14], 4, v[15:16]
	v_add_co_u32 v7, s0, v21, v10
	s_wait_alu 0xf1ff
	v_add_co_ci_u32_e64 v8, s0, v22, v11, s0
	v_mov_b32_e32 v10, v12
	v_lshlrev_b64_e32 v[15:16], 4, v[17:18]
	v_add_co_u32 v11, s0, v21, v13
	s_wait_alu 0xf1ff
	v_add_co_ci_u32_e64 v12, s0, v22, v14, s0
	v_lshlrev_b64_e32 v[9:10], 4, v[9:10]
	s_delay_alu instid0(VALU_DEP_4) | instskip(SKIP_2) | instid1(VALU_DEP_3)
	v_add_co_u32 v52, s0, v21, v15
	s_wait_alu 0xf1ff
	v_add_co_ci_u32_e64 v53, s0, v22, v16, s0
	v_add_co_u32 v54, s0, v21, v9
	s_wait_alu 0xf1ff
	v_add_co_ci_u32_e64 v55, s0, v22, v10, s0
	s_clause 0x4
	global_load_b128 v[20:23], v[5:6], off
	global_load_b128 v[16:19], v[7:8], off
	global_load_b128 v[12:15], v[11:12], off
	global_load_b128 v[8:11], v[52:53], off
	global_load_b128 v[4:7], v[54:55], off
.LBB0_13:
	s_or_b32 exec_lo, exec_lo, s1
	s_wait_loadcnt 0xb
	v_add_f64_e32 v[52:53], v[48:49], v[0:1]
	v_add_f64_e32 v[54:55], v[50:51], v[2:3]
	s_wait_loadcnt 0x1
	v_add_f64_e64 v[62:63], v[46:47], -v[10:11]
	v_add_f64_e64 v[76:77], v[42:43], -v[14:15]
	;; [unrolled: 1-line block ×3, first 2 shown]
	s_wait_loadcnt 0x0
	v_add_f64_e64 v[84:85], v[50:51], -v[6:7]
	v_add_f64_e64 v[82:83], v[48:49], -v[4:5]
	;; [unrolled: 1-line block ×4, first 2 shown]
	v_add_f64_e32 v[66:67], v[32:33], v[20:21]
	s_mov_b32 s26, 0x42a4c3d2
	s_mov_b32 s27, 0xbfea55e2
	;; [unrolled: 1-line block ×8, first 2 shown]
	v_add_f64_e64 v[60:61], v[44:45], -v[8:9]
	s_mov_b32 s19, 0xbfddbe06
	s_mov_b32 s18, 0x4267c47c
	;; [unrolled: 1-line block ×4, first 2 shown]
	v_add_f64_e64 v[74:75], v[40:41], -v[12:13]
	v_add_f64_e32 v[68:69], v[28:29], v[24:25]
	v_add_f64_e64 v[86:87], v[28:29], -v[24:25]
	v_add_f64_e64 v[88:89], v[30:31], -v[26:27]
	s_mov_b32 s2, 0x1ea71119
	s_mov_b32 s3, 0x3fe22d96
	;; [unrolled: 1-line block ×10, first 2 shown]
	s_wait_alu 0xfffe
	s_mov_b32 s34, s24
	v_add_f64_e32 v[56:57], v[44:45], v[52:53]
	v_add_f64_e32 v[58:59], v[46:47], v[54:55]
	;; [unrolled: 1-line block ×6, first 2 shown]
	v_mul_f64_e32 v[102:103], s[26:27], v[84:85]
	v_mul_f64_e32 v[112:113], s[26:27], v[82:83]
	;; [unrolled: 1-line block ×10, first 2 shown]
	v_add_f64_e32 v[50:51], v[44:45], v[8:9]
	v_mul_f64_e32 v[118:119], s[22:23], v[62:63]
	v_mul_f64_e32 v[120:121], s[22:23], v[60:61]
	s_mov_b32 s1, 0x3fec55a7
	s_mov_b32 s15, 0xbfe7f3cc
	;; [unrolled: 1-line block ×5, first 2 shown]
	v_mul_f64_e32 v[134:135], s[20:21], v[62:63]
	v_mul_f64_e32 v[136:137], s[20:21], v[60:61]
	s_mov_b32 s19, 0x3fddbe06
	v_mul_f64_e32 v[148:149], s[34:35], v[62:63]
	v_mul_f64_e32 v[150:151], s[34:35], v[60:61]
	;; [unrolled: 1-line block ×7, first 2 shown]
	s_wait_alu 0xfffe
	v_mul_f64_e32 v[62:63], s[18:19], v[62:63]
	v_mul_f64_e32 v[60:61], s[18:19], v[60:61]
	s_mov_b32 s41, 0x3fedeba7
	s_mov_b32 s40, s22
	v_add_f64_e32 v[96:97], v[40:41], v[56:57]
	v_add_f64_e32 v[98:99], v[42:43], v[58:59]
	;; [unrolled: 1-line block ×6, first 2 shown]
	v_fma_f64 v[212:213], v[52:53], s[2:3], v[102:103]
	v_fma_f64 v[102:103], v[52:53], s[2:3], -v[102:103]
	v_fma_f64 v[214:215], v[52:53], s[6:7], v[104:105]
	v_fma_f64 v[216:217], v[52:53], s[12:13], v[106:107]
	v_fma_f64 v[222:223], v[48:49], s[12:13], -v[114:115]
	v_fma_f64 v[210:211], v[52:53], s[0:1], v[100:101]
	v_fma_f64 v[100:101], v[52:53], s[0:1], -v[100:101]
	v_fma_f64 v[104:105], v[52:53], s[6:7], -v[104:105]
	;; [unrolled: 1-line block ×3, first 2 shown]
	v_fma_f64 v[218:219], v[52:53], s[14:15], v[108:109]
	v_fma_f64 v[108:109], v[52:53], s[14:15], -v[108:109]
	v_fma_f64 v[220:221], v[52:53], s[16:17], v[84:85]
	v_fma_f64 v[52:53], v[52:53], s[16:17], -v[84:85]
	v_fma_f64 v[84:85], v[48:49], s[0:1], -v[110:111]
	v_fma_f64 v[110:111], v[48:49], s[0:1], v[110:111]
	v_fma_f64 v[114:115], v[48:49], s[12:13], v[114:115]
	v_fma_f64 v[224:225], v[48:49], s[14:15], -v[116:117]
	v_fma_f64 v[116:117], v[48:49], s[14:15], v[116:117]
	v_add_f64_e64 v[70:71], v[36:37], -v[16:17]
	v_mul_f64_e32 v[122:123], s[20:21], v[76:77]
	v_mul_f64_e32 v[124:125], s[20:21], v[74:75]
	v_fma_f64 v[228:229], v[54:55], s[12:13], -v[120:121]
	v_mul_f64_e32 v[138:139], s[40:41], v[76:77]
	v_mul_f64_e32 v[140:141], s[40:41], v[74:75]
	v_fma_f64 v[234:235], v[50:51], s[16:17], v[134:135]
	v_fma_f64 v[236:237], v[54:55], s[16:17], -v[136:137]
	v_mul_f64_e32 v[172:173], s[28:29], v[76:77]
	v_mul_f64_e32 v[174:175], s[26:27], v[76:77]
	;; [unrolled: 1-line block ×4, first 2 shown]
	v_fma_f64 v[242:243], v[50:51], s[14:15], v[148:149]
	v_fma_f64 v[244:245], v[54:55], s[14:15], -v[150:151]
	v_add_f64_e32 v[96:97], v[36:37], v[96:97]
	v_add_f64_e32 v[38:39], v[38:39], v[98:99]
	v_mul_f64_e32 v[98:99], s[28:29], v[82:83]
	v_mul_f64_e32 v[82:83], s[20:21], v[82:83]
	v_fma_f64 v[246:247], v[50:51], s[2:3], v[164:165]
	v_fma_f64 v[164:165], v[50:51], s[2:3], -v[164:165]
	v_add_f64_e32 v[212:213], v[212:213], v[0:1]
	v_fma_f64 v[134:135], v[50:51], s[16:17], -v[134:135]
	v_add_f64_e32 v[214:215], v[214:215], v[0:1]
	v_add_f64_e32 v[216:217], v[216:217], v[0:1]
	;; [unrolled: 1-line block ×3, first 2 shown]
	v_fma_f64 v[148:149], v[50:51], s[14:15], -v[148:149]
	v_fma_f64 v[248:249], v[50:51], s[6:7], v[166:167]
	v_fma_f64 v[250:251], v[54:55], s[2:3], -v[168:169]
	v_fma_f64 v[168:169], v[54:55], s[2:3], v[168:169]
	v_fma_f64 v[120:121], v[54:55], s[12:13], v[120:121]
	;; [unrolled: 1-line block ×4, first 2 shown]
	v_fma_f64 v[252:253], v[54:55], s[6:7], -v[170:171]
	v_add_f64_e32 v[100:101], v[100:101], v[0:1]
	v_add_f64_e32 v[110:111], v[110:111], v[2:3]
	;; [unrolled: 1-line block ×8, first 2 shown]
	v_fma_f64 v[166:167], v[50:51], s[6:7], -v[166:167]
	v_fma_f64 v[170:171], v[54:55], s[6:7], v[170:171]
	v_add_f64_e32 v[108:109], v[108:109], v[0:1]
	v_add_f64_e32 v[116:117], v[116:117], v[2:3]
	v_add_f64_e32 v[220:221], v[220:221], v[0:1]
	v_add_f64_e32 v[210:211], v[210:211], v[0:1]
	v_add_f64_e32 v[84:85], v[84:85], v[2:3]
	v_add_f64_e32 v[0:1], v[52:53], v[0:1]
	s_mov_b32 s37, 0x3fcea1e5
	s_mov_b32 s39, 0x3fea55e2
	;; [unrolled: 1-line block ×3, first 2 shown]
	v_add_f64_e32 v[32:33], v[32:33], v[96:97]
	v_add_f64_e32 v[34:35], v[34:35], v[38:39]
	v_mul_f64_e32 v[38:39], s[28:29], v[74:75]
	v_fma_f64 v[226:227], v[48:49], s[16:17], -v[82:83]
	v_mul_f64_e32 v[96:97], s[26:27], v[74:75]
	v_mul_f64_e32 v[74:75], s[18:19], v[74:75]
	s_mov_b32 s38, s26
	v_add_f64_e32 v[40:41], v[16:17], v[36:37]
	v_mul_f64_e32 v[126:127], s[34:35], v[72:73]
	v_mul_f64_e32 v[128:129], s[34:35], v[70:71]
	v_fma_f64 v[230:231], v[44:45], s[16:17], v[122:123]
	v_fma_f64 v[232:233], v[46:47], s[16:17], -v[124:125]
	v_mul_f64_e32 v[152:153], s[28:29], v[72:73]
	v_mul_f64_e32 v[154:155], s[28:29], v[70:71]
	;; [unrolled: 1-line block ×8, first 2 shown]
	v_fma_f64 v[238:239], v[44:45], s[12:13], v[138:139]
	v_fma_f64 v[240:241], v[46:47], s[12:13], -v[140:141]
	v_mul_f64_e32 v[72:73], s[18:19], v[72:73]
	v_mul_f64_e32 v[70:71], s[18:19], v[70:71]
	v_add_f64_e32 v[214:215], v[234:235], v[214:215]
	v_fma_f64 v[254:255], v[44:45], s[6:7], v[172:173]
	v_fma_f64 v[172:173], v[44:45], s[6:7], -v[172:173]
	v_add_f64_e32 v[216:217], v[242:243], v[216:217]
	v_add_f64_e32 v[222:223], v[244:245], v[222:223]
	v_fma_f64 v[52:53], v[46:47], s[16:17], v[124:125]
	v_fma_f64 v[124:125], v[46:47], s[12:13], v[140:141]
	v_add_f64_e32 v[100:101], v[164:165], v[100:101]
	v_add_f64_e32 v[110:111], v[168:169], v[110:111]
	;; [unrolled: 1-line block ×9, first 2 shown]
	v_fma_f64 v[32:33], v[48:49], s[2:3], -v[112:113]
	v_fma_f64 v[34:35], v[48:49], s[2:3], v[112:113]
	v_fma_f64 v[112:113], v[48:49], s[6:7], -v[98:99]
	v_fma_f64 v[98:99], v[48:49], s[6:7], v[98:99]
	v_fma_f64 v[48:49], v[48:49], s[16:17], v[82:83]
	;; [unrolled: 1-line block ×3, first 2 shown]
	v_fma_f64 v[118:119], v[50:51], s[12:13], -v[118:119]
	v_add_f64_e32 v[226:227], v[226:227], v[2:3]
	v_fma_f64 v[140:141], v[46:47], s[2:3], -v[96:97]
	v_fma_f64 v[96:97], v[46:47], s[2:3], v[96:97]
	v_add_f64_e32 v[108:109], v[166:167], v[108:109]
	v_add_f64_e32 v[116:117], v[170:171], v[116:117]
	;; [unrolled: 1-line block ×4, first 2 shown]
	v_mul_f64_e32 v[130:131], s[30:31], v[80:81]
	v_mul_f64_e32 v[132:133], s[30:31], v[78:79]
	;; [unrolled: 1-line block ×6, first 2 shown]
	v_fma_f64 v[168:169], v[40:41], s[6:7], v[152:153]
	v_mul_f64_e32 v[192:193], s[24:25], v[80:81]
	v_add_f64_e32 v[214:215], v[238:239], v[214:215]
	v_mul_f64_e32 v[194:195], s[22:23], v[80:81]
	v_mul_f64_e32 v[196:197], s[24:25], v[78:79]
	;; [unrolled: 1-line block ×5, first 2 shown]
	v_fma_f64 v[150:151], v[40:41], s[12:13], v[180:181]
	v_fma_f64 v[180:181], v[40:41], s[12:13], -v[180:181]
	v_fma_f64 v[152:153], v[40:41], s[6:7], -v[152:153]
	v_fma_f64 v[248:249], v[40:41], s[16:17], v[182:183]
	v_fma_f64 v[182:183], v[40:41], s[16:17], -v[182:183]
	v_fma_f64 v[252:253], v[40:41], s[2:3], v[184:185]
	v_fma_f64 v[184:185], v[40:41], s[2:3], -v[184:185]
	v_fma_f64 v[166:167], v[42:43], s[12:13], -v[186:187]
	v_add_f64_e32 v[24:25], v[24:25], v[28:29]
	v_add_f64_e32 v[26:27], v[26:27], v[30:31]
	;; [unrolled: 1-line block ×8, first 2 shown]
	v_fma_f64 v[28:29], v[44:45], s[16:17], -v[122:123]
	v_fma_f64 v[30:31], v[44:45], s[12:13], -v[138:139]
	v_fma_f64 v[122:123], v[44:45], s[2:3], v[174:175]
	v_fma_f64 v[138:139], v[44:45], s[2:3], -v[174:175]
	v_fma_f64 v[174:175], v[44:45], s[14:15], v[176:177]
	v_fma_f64 v[176:177], v[44:45], s[14:15], -v[176:177]
	v_fma_f64 v[48:49], v[46:47], s[6:7], -v[38:39]
	v_fma_f64 v[38:39], v[46:47], s[6:7], v[38:39]
	v_add_f64_e32 v[102:103], v[118:119], v[102:103]
	v_fma_f64 v[212:213], v[40:41], s[14:15], v[126:127]
	v_fma_f64 v[118:119], v[42:43], s[6:7], -v[154:155]
	v_fma_f64 v[126:127], v[40:41], s[14:15], -v[126:127]
	v_fma_f64 v[186:187], v[42:43], s[12:13], v[186:187]
	v_fma_f64 v[154:155], v[42:43], s[6:7], v[154:155]
	v_fma_f64 v[170:171], v[42:43], s[16:17], -v[188:189]
	v_fma_f64 v[188:189], v[42:43], s[16:17], v[188:189]
	v_add_f64_e32 v[96:97], v[96:97], v[116:117]
	v_mul_f64_e32 v[146:147], s[24:25], v[88:89]
	v_mul_f64_e32 v[36:37], s[24:25], v[86:87]
	;; [unrolled: 1-line block ×10, first 2 shown]
	v_fma_f64 v[234:235], v[66:67], s[6:7], v[130:131]
	v_fma_f64 v[242:243], v[66:67], s[2:3], v[142:143]
	v_fma_f64 v[244:245], v[56:57], s[2:3], -v[144:145]
	v_add_f64_e32 v[20:21], v[20:21], v[24:25]
	v_add_f64_e32 v[22:23], v[22:23], v[26:27]
	v_fma_f64 v[24:25], v[46:47], s[14:15], -v[178:179]
	v_fma_f64 v[26:27], v[46:47], s[14:15], v[178:179]
	v_fma_f64 v[178:179], v[50:51], s[0:1], v[62:63]
	v_fma_f64 v[50:51], v[50:51], s[0:1], -v[62:63]
	v_fma_f64 v[62:63], v[54:55], s[0:1], -v[60:61]
	v_fma_f64 v[54:55], v[54:55], s[0:1], v[60:61]
	v_add_f64_e32 v[32:33], v[228:229], v[32:33]
	v_add_f64_e32 v[112:113], v[236:237], v[112:113]
	v_fma_f64 v[60:61], v[44:45], s[0:1], v[76:77]
	v_fma_f64 v[44:45], v[44:45], s[0:1], -v[76:77]
	v_fma_f64 v[76:77], v[46:47], s[0:1], -v[74:75]
	v_fma_f64 v[46:47], v[46:47], s[0:1], v[74:75]
	v_add_f64_e32 v[34:35], v[120:121], v[34:35]
	v_add_f64_e32 v[98:99], v[136:137], v[98:99]
	v_fma_f64 v[228:229], v[42:43], s[14:15], -v[128:129]
	v_add_f64_e32 v[82:83], v[230:231], v[82:83]
	v_fma_f64 v[128:129], v[42:43], s[14:15], v[128:129]
	v_add_f64_e32 v[38:39], v[38:39], v[110:111]
	v_add_f64_e32 v[28:29], v[28:29], v[102:103]
	;; [unrolled: 1-line block ×5, first 2 shown]
	v_mul_f64_e32 v[74:75], s[20:21], v[86:87]
	v_mul_f64_e32 v[86:87], s[18:19], v[86:87]
	v_fma_f64 v[236:237], v[56:57], s[6:7], -v[132:133]
	v_fma_f64 v[120:121], v[66:67], s[16:17], v[156:157]
	v_fma_f64 v[134:135], v[56:57], s[16:17], -v[158:159]
	v_fma_f64 v[130:131], v[66:67], s[6:7], -v[130:131]
	;; [unrolled: 1-line block ×4, first 2 shown]
	v_fma_f64 v[84:85], v[56:57], s[2:3], v[144:145]
	v_fma_f64 v[108:109], v[56:57], s[16:17], v[158:159]
	v_fma_f64 v[110:111], v[56:57], s[12:13], -v[198:199]
	v_add_f64_e32 v[96:97], v[188:189], v[96:97]
	v_fma_f64 v[246:247], v[68:69], s[14:15], v[146:147]
	v_fma_f64 v[164:165], v[58:59], s[14:15], -v[36:37]
	v_add_f64_e32 v[16:17], v[16:17], v[20:21]
	v_add_f64_e32 v[18:19], v[18:19], v[22:23]
	v_fma_f64 v[20:21], v[42:43], s[2:3], -v[190:191]
	v_fma_f64 v[22:23], v[42:43], s[2:3], v[190:191]
	v_add_f64_e32 v[178:179], v[178:179], v[220:221]
	v_add_f64_e32 v[0:1], v[50:51], v[0:1]
	;; [unrolled: 1-line block ×5, first 2 shown]
	v_fma_f64 v[50:51], v[40:41], s[0:1], v[72:73]
	v_fma_f64 v[54:55], v[42:43], s[0:1], -v[70:71]
	v_add_f64_e32 v[112:113], v[240:241], v[112:113]
	v_add_f64_e32 v[60:61], v[60:61], v[216:217]
	;; [unrolled: 1-line block ×3, first 2 shown]
	v_fma_f64 v[40:41], v[40:41], s[0:1], -v[72:73]
	v_fma_f64 v[42:43], v[42:43], s[0:1], v[70:71]
	v_add_f64_e32 v[72:73], v[172:173], v[100:101]
	v_add_f64_e32 v[34:35], v[52:53], v[34:35]
	;; [unrolled: 1-line block ×9, first 2 shown]
	v_fma_f64 v[190:191], v[66:67], s[14:15], v[192:193]
	v_fma_f64 v[192:193], v[66:67], s[14:15], -v[192:193]
	v_fma_f64 v[106:107], v[66:67], s[12:13], v[194:195]
	v_add_f64_e32 v[38:39], v[186:187], v[38:39]
	v_add_f64_e32 v[28:29], v[126:127], v[28:29]
	;; [unrolled: 1-line block ×3, first 2 shown]
	v_fma_f64 v[136:137], v[68:69], s[2:3], v[160:161]
	v_fma_f64 v[148:149], v[58:59], s[2:3], -v[162:163]
	v_fma_f64 v[114:115], v[68:69], s[14:15], -v[146:147]
	;; [unrolled: 1-line block ×3, first 2 shown]
	v_fma_f64 v[122:123], v[68:69], s[6:7], v[204:205]
	v_fma_f64 v[124:125], v[68:69], s[6:7], -v[204:205]
	v_add_f64_e32 v[12:13], v[12:13], v[16:17]
	v_add_f64_e32 v[14:15], v[14:15], v[18:19]
	v_fma_f64 v[16:17], v[56:57], s[14:15], v[196:197]
	v_fma_f64 v[18:19], v[56:57], s[6:7], v[132:133]
	v_add_f64_e32 v[104:105], v[174:175], v[178:179]
	v_add_f64_e32 v[0:1], v[176:177], v[0:1]
	;; [unrolled: 1-line block ×6, first 2 shown]
	v_fma_f64 v[62:63], v[66:67], s[12:13], -v[194:195]
	v_add_f64_e32 v[54:55], v[54:55], v[112:113]
	v_add_f64_e32 v[60:61], v[168:169], v[60:61]
	;; [unrolled: 1-line block ×3, first 2 shown]
	v_fma_f64 v[112:113], v[66:67], s[0:1], v[80:81]
	v_fma_f64 v[66:67], v[66:67], s[0:1], -v[80:81]
	v_fma_f64 v[80:81], v[56:57], s[0:1], -v[78:79]
	v_add_f64_e32 v[34:35], v[128:129], v[34:35]
	v_add_f64_e32 v[30:31], v[40:41], v[30:31]
	;; [unrolled: 1-line block ×7, first 2 shown]
	v_fma_f64 v[78:79], v[56:57], s[0:1], v[78:79]
	v_add_f64_e32 v[98:99], v[182:183], v[102:103]
	v_fma_f64 v[26:27], v[56:57], s[14:15], -v[196:197]
	v_fma_f64 v[56:57], v[56:57], s[12:13], v[198:199]
	v_add_f64_e32 v[72:73], v[180:181], v[72:73]
	v_add_f64_e32 v[70:71], v[150:151], v[70:71]
	v_add_f64_e32 v[82:83], v[234:235], v[82:83]
	v_fma_f64 v[102:103], v[68:69], s[16:17], v[200:201]
	v_fma_f64 v[118:119], v[68:69], s[12:13], v[202:203]
	v_add_f64_e32 v[28:29], v[130:131], v[28:29]
	v_add_f64_e32 v[8:9], v[8:9], v[12:13]
	;; [unrolled: 1-line block ×7, first 2 shown]
	v_fma_f64 v[24:25], v[68:69], s[0:1], v[88:89]
	v_fma_f64 v[22:23], v[58:59], s[0:1], -v[86:87]
	v_add_f64_e32 v[32:33], v[236:237], v[32:33]
	v_add_f64_e32 v[50:51], v[242:243], v[50:51]
	;; [unrolled: 1-line block ×5, first 2 shown]
	v_fma_f64 v[104:105], v[68:69], s[16:17], -v[200:201]
	v_fma_f64 v[120:121], v[68:69], s[12:13], -v[202:203]
	;; [unrolled: 1-line block ×3, first 2 shown]
	v_add_f64_e32 v[88:89], v[16:17], v[38:39]
	v_add_f64_e32 v[126:127], v[18:19], v[34:35]
	;; [unrolled: 1-line block ×6, first 2 shown]
	v_fma_f64 v[46:47], v[58:59], s[12:13], -v[206:207]
	v_add_f64_e32 v[108:109], v[108:109], v[44:45]
	v_add_f64_e32 v[42:43], v[66:67], v[98:99]
	;; [unrolled: 1-line block ×3, first 2 shown]
	v_fma_f64 v[78:79], v[58:59], s[6:7], -v[208:209]
	v_fma_f64 v[80:81], v[58:59], s[12:13], v[206:207]
	v_add_f64_e32 v[30:31], v[142:143], v[30:31]
	v_fma_f64 v[96:97], v[58:59], s[2:3], v[162:163]
	v_fma_f64 v[98:99], v[58:59], s[14:15], v[36:37]
	;; [unrolled: 1-line block ×3, first 2 shown]
	v_add_f64_e32 v[72:73], v[192:193], v[72:73]
	v_add_f64_e32 v[70:71], v[190:191], v[70:71]
	v_cmp_gt_u32_e64 s0, 39, v91
	v_add_f64_e32 v[4:5], v[4:5], v[8:9]
	v_add_f64_e32 v[6:7], v[6:7], v[10:11]
	;; [unrolled: 1-line block ×6, first 2 shown]
	v_fma_f64 v[56:57], v[58:59], s[6:7], v[208:209]
	v_fma_f64 v[100:101], v[58:59], s[16:17], v[74:75]
	v_fma_f64 v[58:59], v[58:59], s[16:17], -v[74:75]
	v_add_f64_e32 v[74:75], v[26:27], v[48:49]
	v_add_f64_e32 v[8:9], v[24:25], v[82:83]
	;; [unrolled: 1-line block ×8, first 2 shown]
	v_lshl_add_u32 v68, v94, 4, 0
	v_lshl_add_u32 v69, v93, 4, 0
	v_add_f64_e32 v[28:29], v[116:117], v[34:35]
	v_add_f64_e32 v[32:33], v[118:119], v[38:39]
                                        ; implicit-def: $vgpr54_vgpr55
	v_add_f64_e32 v[34:35], v[46:47], v[40:41]
	v_add_f64_e32 v[36:37], v[120:121], v[42:43]
	;; [unrolled: 1-line block ×9, first 2 shown]
	v_mad_u32_u24 v52, 0xd0, v91, 0
	v_add_f64_e32 v[40:41], v[122:123], v[44:45]
	v_add_f64_e32 v[44:45], v[124:125], v[62:63]
	;; [unrolled: 1-line block ×3, first 2 shown]
	s_delay_alu instid0(VALU_DEP_4)
	v_mad_i32_i24 v66, 0xffffff40, v91, v52
	v_add_f64_e32 v[46:47], v[56:57], v[2:3]
	v_add_f64_e32 v[2:3], v[100:101], v[88:89]
	v_lshl_add_u32 v67, v95, 4, 0
	v_add_f64_e32 v[50:51], v[58:59], v[74:75]
                                        ; implicit-def: $vgpr58_vgpr59
                                        ; implicit-def: $vgpr62_vgpr63
	ds_store_b128 v52, v[8:11] offset:32
	ds_store_b128 v52, v[12:15] offset:48
	ds_store_b128 v52, v[16:19] offset:64
	ds_store_b128 v52, v[32:35] offset:80
	ds_store_b128 v52, v[40:43] offset:96
	ds_store_b128 v52, v[44:47] offset:112
	ds_store_b128 v52, v[36:39] offset:128
	ds_store_b128 v52, v[28:31] offset:144
	ds_store_b128 v52, v[24:27] offset:160
	ds_store_b128 v52, v[20:23] offset:176
	ds_store_b128 v52, v[0:3] offset:192
	ds_store_b128 v52, v[4:7]
	ds_store_b128 v52, v[48:51] offset:16
	global_wb scope:SCOPE_SE
	s_wait_dscnt 0x0
	s_barrier_signal -1
	s_barrier_wait -1
	global_inv scope:SCOPE_SE
	ds_load_b128 v[8:11], v66
	ds_load_b128 v[44:47], v66 offset:8112
	ds_load_b128 v[32:35], v66 offset:16224
	;; [unrolled: 1-line block ×3, first 2 shown]
	ds_load_b128 v[12:15], v68
	ds_load_b128 v[4:7], v69
	ds_load_b128 v[36:39], v66 offset:10608
	ds_load_b128 v[20:23], v66 offset:13104
	;; [unrolled: 1-line block ×6, first 2 shown]
	s_and_saveexec_b32 s1, s0
	s_cbranch_execz .LBB0_15
; %bb.14:
	ds_load_b128 v[52:55], v66 offset:15600
	ds_load_b128 v[56:59], v66 offset:23712
	ds_load_b128 v[0:3], v67
	ds_load_b128 v[60:63], v66 offset:31824
.LBB0_15:
	s_wait_alu 0xfffe
	s_or_b32 exec_lo, exec_lo, s1
	v_and_b32_e32 v70, 0xff, v91
	v_and_b32_e32 v71, 0xffff, v94
	;; [unrolled: 1-line block ×4, first 2 shown]
	s_delay_alu instid0(VALU_DEP_4) | instskip(NEXT) | instid1(VALU_DEP_4)
	v_mul_lo_u16 v70, 0x4f, v70
	v_mul_u32_u24_e32 v71, 0x4ec5, v71
	s_delay_alu instid0(VALU_DEP_4) | instskip(NEXT) | instid1(VALU_DEP_4)
	v_mul_u32_u24_e32 v73, 0x4ec5, v72
	v_mul_u32_u24_e32 v72, 0x4ec5, v74
	s_delay_alu instid0(VALU_DEP_4) | instskip(NEXT) | instid1(VALU_DEP_4)
	v_lshrrev_b16 v154, 10, v70
	v_lshrrev_b32_e32 v155, 18, v71
	s_delay_alu instid0(VALU_DEP_4) | instskip(NEXT) | instid1(VALU_DEP_4)
	v_lshrrev_b32_e32 v156, 18, v73
	v_lshrrev_b32_e32 v74, 18, v72
	s_delay_alu instid0(VALU_DEP_4) | instskip(NEXT) | instid1(VALU_DEP_4)
	v_mul_lo_u16 v75, v154, 13
	v_mul_lo_u16 v76, v155, 13
	s_delay_alu instid0(VALU_DEP_3) | instskip(NEXT) | instid1(VALU_DEP_3)
	v_mul_lo_u16 v77, v74, 13
	v_sub_nc_u16 v75, v91, v75
	s_delay_alu instid0(VALU_DEP_1) | instskip(NEXT) | instid1(VALU_DEP_4)
	v_and_b32_e32 v157, 0xff, v75
	v_sub_nc_u16 v75, v94, v76
	v_mul_lo_u16 v76, v156, 13
	s_delay_alu instid0(VALU_DEP_3) | instskip(NEXT) | instid1(VALU_DEP_3)
	v_mul_u32_u24_e32 v78, 3, v157
	v_and_b32_e32 v158, 0xffff, v75
	s_delay_alu instid0(VALU_DEP_3) | instskip(SKIP_1) | instid1(VALU_DEP_4)
	v_sub_nc_u16 v75, v93, v76
	v_sub_nc_u16 v76, v95, v77
	v_lshlrev_b32_e32 v84, 4, v78
	s_delay_alu instid0(VALU_DEP_4) | instskip(NEXT) | instid1(VALU_DEP_4)
	v_mul_u32_u24_e32 v85, 3, v158
	v_and_b32_e32 v159, 0xffff, v75
	s_delay_alu instid0(VALU_DEP_4)
	v_and_b32_e32 v75, 0xffff, v76
	s_clause 0x1
	global_load_b128 v[76:79], v84, s[4:5] offset:16
	global_load_b128 v[80:83], v84, s[4:5]
	v_lshlrev_b32_e32 v88, 4, v85
	v_mul_u32_u24_e32 v89, 3, v159
	v_mul_u32_u24_e32 v112, 3, v75
	s_clause 0x1
	global_load_b128 v[84:87], v84, s[4:5] offset:32
	global_load_b128 v[96:99], v88, s[4:5]
	v_lshlrev_b32_e32 v89, 4, v89
	s_clause 0x2
	global_load_b128 v[100:103], v88, s[4:5] offset:16
	global_load_b128 v[104:107], v88, s[4:5] offset:32
	global_load_b128 v[108:111], v89, s[4:5]
	v_lshlrev_b32_e32 v88, 4, v112
	s_clause 0x4
	global_load_b128 v[112:115], v89, s[4:5] offset:16
	global_load_b128 v[116:119], v89, s[4:5] offset:32
	global_load_b128 v[120:123], v88, s[4:5]
	global_load_b128 v[124:127], v88, s[4:5] offset:16
	global_load_b128 v[128:131], v88, s[4:5] offset:32
	global_wb scope:SCOPE_SE
	s_wait_loadcnt_dscnt 0x0
	s_barrier_signal -1
	s_barrier_wait -1
	global_inv scope:SCOPE_SE
	v_mul_f64_e32 v[132:133], v[34:35], v[78:79]
	v_mul_f64_e32 v[88:89], v[46:47], v[82:83]
	;; [unrolled: 1-line block ×24, first 2 shown]
	v_fma_f64 v[32:33], v[32:33], v[76:77], v[132:133]
	v_fma_f64 v[44:45], v[44:45], v[80:81], v[88:89]
	v_fma_f64 v[46:47], v[46:47], v[80:81], -v[82:83]
	v_fma_f64 v[34:35], v[34:35], v[76:77], -v[78:79]
	v_fma_f64 v[48:49], v[48:49], v[84:85], v[134:135]
	v_fma_f64 v[50:51], v[50:51], v[84:85], -v[86:87]
	v_fma_f64 v[36:37], v[36:37], v[96:97], v[136:137]
	;; [unrolled: 2-line block ×10, first 2 shown]
	v_fma_f64 v[62:63], v[62:63], v[128:129], -v[130:131]
	v_add_f64_e64 v[76:77], v[8:9], -v[32:33]
	v_add_f64_e64 v[78:79], v[10:11], -v[34:35]
	;; [unrolled: 1-line block ×16, first 2 shown]
	v_fma_f64 v[8:9], v[8:9], 2.0, -v[76:77]
	v_fma_f64 v[10:11], v[10:11], 2.0, -v[78:79]
	;; [unrolled: 1-line block ×4, first 2 shown]
	v_add_f64_e32 v[16:17], v[76:77], v[34:35]
	v_add_f64_e64 v[18:19], v[78:79], -v[32:33]
	v_fma_f64 v[60:61], v[12:13], 2.0, -v[48:49]
	v_fma_f64 v[62:63], v[14:15], 2.0, -v[50:51]
	;; [unrolled: 1-line block ×8, first 2 shown]
	v_add_f64_e32 v[20:21], v[48:49], v[42:43]
	v_add_f64_e64 v[22:23], v[50:51], -v[40:41]
	v_fma_f64 v[0:1], v[0:1], 2.0, -v[88:89]
	v_fma_f64 v[2:3], v[2:3], 2.0, -v[96:97]
	v_fma_f64 v[44:45], v[52:53], 2.0, -v[56:57]
	v_fma_f64 v[46:47], v[54:55], 2.0, -v[58:59]
	v_add_f64_e32 v[32:33], v[80:81], v[86:87]
	v_add_f64_e64 v[34:35], v[82:83], -v[84:85]
	v_add_f64_e64 v[24:25], v[8:9], -v[24:25]
	;; [unrolled: 1-line block ×3, first 2 shown]
	v_fma_f64 v[40:41], v[76:77], 2.0, -v[16:17]
	v_fma_f64 v[42:43], v[78:79], 2.0, -v[18:19]
	v_and_b32_e32 v76, 0xffff, v154
	v_lshlrev_b32_e32 v79, 4, v157
	v_add_f64_e64 v[28:29], v[60:61], -v[12:13]
	v_add_f64_e64 v[30:31], v[62:63], -v[14:15]
	v_add_f64_e32 v[12:13], v[88:89], v[58:59]
	v_add_f64_e64 v[14:15], v[96:97], -v[56:57]
	v_mul_u32_u24_e32 v76, 0x340, v76
	v_mul_u32_u24_e32 v77, 0x340, v155
	v_add_f64_e64 v[36:37], v[98:99], -v[4:5]
	v_add_f64_e64 v[38:39], v[100:101], -v[6:7]
	v_mul_u32_u24_e32 v78, 0x340, v156
	v_add3_u32 v76, 0, v76, v79
	v_add_f64_e64 v[4:5], v[0:1], -v[44:45]
	v_add_f64_e64 v[6:7], v[2:3], -v[46:47]
	v_fma_f64 v[44:45], v[48:49], 2.0, -v[20:21]
	v_fma_f64 v[46:47], v[50:51], 2.0, -v[22:23]
	;; [unrolled: 1-line block ×4, first 2 shown]
	v_lshlrev_b32_e32 v80, 4, v158
	v_lshlrev_b32_e32 v81, 4, v159
	s_delay_alu instid0(VALU_DEP_2) | instskip(NEXT) | instid1(VALU_DEP_2)
	v_add3_u32 v77, 0, v77, v80
	v_add3_u32 v78, 0, v78, v81
	v_fma_f64 v[48:49], v[8:9], 2.0, -v[24:25]
	v_fma_f64 v[50:51], v[10:11], 2.0, -v[26:27]
	;; [unrolled: 1-line block ×8, first 2 shown]
	ds_store_b128 v76, v[24:27] offset:416
	ds_store_b128 v76, v[16:19] offset:624
	ds_store_b128 v76, v[48:51]
	ds_store_b128 v76, v[40:43] offset:208
	ds_store_b128 v77, v[52:55]
	ds_store_b128 v77, v[44:47] offset:208
	ds_store_b128 v77, v[28:31] offset:416
	;; [unrolled: 1-line block ×3, first 2 shown]
	ds_store_b128 v78, v[60:63]
	ds_store_b128 v78, v[56:59] offset:208
	ds_store_b128 v78, v[36:39] offset:416
	;; [unrolled: 1-line block ×3, first 2 shown]
	v_fma_f64 v[0:1], v[0:1], 2.0, -v[4:5]
	v_fma_f64 v[2:3], v[2:3], 2.0, -v[6:7]
	s_and_saveexec_b32 s1, s0
	s_cbranch_execz .LBB0_17
; %bb.16:
	v_mul_lo_u16 v16, v74, 52
	v_lshlrev_b32_e32 v17, 4, v75
	s_delay_alu instid0(VALU_DEP_2) | instskip(NEXT) | instid1(VALU_DEP_1)
	v_and_b32_e32 v16, 0xffff, v16
	v_lshlrev_b32_e32 v16, 4, v16
	s_delay_alu instid0(VALU_DEP_1)
	v_add3_u32 v16, 0, v17, v16
	ds_store_b128 v16, v[0:3]
	ds_store_b128 v16, v[8:11] offset:208
	ds_store_b128 v16, v[4:7] offset:416
	;; [unrolled: 1-line block ×3, first 2 shown]
.LBB0_17:
	s_wait_alu 0xfffe
	s_or_b32 exec_lo, exec_lo, s1
	global_wb scope:SCOPE_SE
	s_wait_dscnt 0x0
	s_barrier_signal -1
	s_barrier_wait -1
	global_inv scope:SCOPE_SE
	ds_load_b128 v[16:19], v66
	ds_load_b128 v[40:43], v66 offset:10816
	ds_load_b128 v[32:35], v66 offset:13312
	;; [unrolled: 1-line block ×5, first 2 shown]
	ds_load_b128 v[20:23], v69
	ds_load_b128 v[12:15], v67
	ds_load_b128 v[56:59], v66 offset:21632
	ds_load_b128 v[44:47], v66 offset:18304
	ds_load_b128 v[24:27], v68
	ds_load_b128 v[48:51], v66 offset:29120
	v_cmp_gt_u32_e64 s0, 52, v91
	v_lshl_add_u32 v60, v91, 4, 0
	s_delay_alu instid0(VALU_DEP_2)
	s_and_saveexec_b32 s1, s0
	s_cbranch_execz .LBB0_19
; %bb.18:
	ds_load_b128 v[0:3], v60 offset:9984
	ds_load_b128 v[8:11], v66 offset:20800
	;; [unrolled: 1-line block ×3, first 2 shown]
.LBB0_19:
	s_wait_alu 0xfffe
	s_or_b32 exec_lo, exec_lo, s1
	v_lshrrev_b16 v63, 12, v70
	v_lshrrev_b32_e32 v119, 20, v71
	v_lshrrev_b32_e32 v120, 20, v73
	;; [unrolled: 1-line block ×3, first 2 shown]
	s_mov_b32 s2, 0xe8584caa
	v_mul_lo_u16 v61, v63, 52
	v_mul_lo_u16 v62, v119, 52
	;; [unrolled: 1-line block ×3, first 2 shown]
	s_mov_b32 s3, 0xbfebb67a
	s_mov_b32 s7, 0x3febb67a
	v_sub_nc_u16 v61, v91, v61
	v_sub_nc_u16 v62, v94, v62
	;; [unrolled: 1-line block ×3, first 2 shown]
	s_wait_alu 0xfffe
	s_mov_b32 s6, s2
	v_and_b32_e32 v122, 0xff, v61
	v_mul_lo_u16 v61, v121, 52
	v_and_b32_e32 v123, 0xffff, v62
	v_and_b32_e32 v124, 0xffff, v70
	s_delay_alu instid0(VALU_DEP_4) | instskip(NEXT) | instid1(VALU_DEP_4)
	v_lshlrev_b32_e32 v62, 5, v122
	v_sub_nc_u16 v61, v95, v61
	s_delay_alu instid0(VALU_DEP_4)
	v_lshlrev_b32_e32 v82, 5, v123
	s_clause 0x1
	global_load_b128 v[70:73], v62, s[4:5] offset:624
	global_load_b128 v[74:77], v62, s[4:5] offset:640
	v_and_b32_e32 v125, 0xffff, v61
	v_lshlrev_b32_e32 v61, 5, v124
	s_clause 0x1
	global_load_b128 v[78:81], v82, s[4:5] offset:624
	global_load_b128 v[82:85], v82, s[4:5] offset:640
	v_lshlrev_b32_e32 v62, 5, v125
	s_clause 0x3
	global_load_b128 v[86:89], v61, s[4:5] offset:624
	global_load_b128 v[93:96], v61, s[4:5] offset:640
	;; [unrolled: 1-line block ×4, first 2 shown]
	global_wb scope:SCOPE_SE
	s_wait_loadcnt_dscnt 0x0
	s_barrier_signal -1
	s_barrier_wait -1
	global_inv scope:SCOPE_SE
	v_mul_f64_e32 v[61:62], v[42:43], v[72:73]
	v_mul_f64_e32 v[105:106], v[58:59], v[76:77]
	;; [unrolled: 1-line block ×16, first 2 shown]
	v_fma_f64 v[40:41], v[40:41], v[70:71], v[61:62]
	v_fma_f64 v[56:57], v[56:57], v[74:75], v[105:106]
	v_fma_f64 v[42:43], v[42:43], v[70:71], -v[72:73]
	v_fma_f64 v[58:59], v[58:59], v[74:75], -v[76:77]
	v_fma_f64 v[32:33], v[32:33], v[78:79], v[107:108]
	v_fma_f64 v[52:53], v[52:53], v[82:83], v[109:110]
	v_fma_f64 v[34:35], v[34:35], v[78:79], -v[80:81]
	v_fma_f64 v[54:55], v[54:55], v[82:83], -v[84:85]
	;; [unrolled: 4-line block ×4, first 2 shown]
	v_add_f64_e32 v[84:85], v[16:17], v[40:41]
	v_add_f64_e32 v[61:62], v[40:41], v[56:57]
	v_add_f64_e64 v[40:41], v[40:41], -v[56:57]
	v_add_f64_e32 v[70:71], v[42:43], v[58:59]
	v_add_f64_e64 v[86:87], v[42:43], -v[58:59]
	v_add_f64_e32 v[72:73], v[32:33], v[52:53]
	v_add_f64_e32 v[42:43], v[18:19], v[42:43]
	;; [unrolled: 1-line block ×11, first 2 shown]
	v_add_f64_e64 v[103:104], v[34:35], -v[54:55]
	v_add_f64_e64 v[105:106], v[32:33], -v[52:53]
	;; [unrolled: 1-line block ×4, first 2 shown]
	v_add_f64_e32 v[99:100], v[12:13], v[44:45]
	v_add_f64_e32 v[101:102], v[14:15], v[46:47]
	v_add_f64_e64 v[111:112], v[46:47], -v[50:51]
	v_add_f64_e64 v[113:114], v[44:45], -v[48:49]
	v_fma_f64 v[61:62], v[61:62], -0.5, v[16:17]
	v_fma_f64 v[70:71], v[70:71], -0.5, v[18:19]
	;; [unrolled: 1-line block ×4, first 2 shown]
	v_add_f64_e32 v[16:17], v[88:89], v[52:53]
	v_fma_f64 v[76:77], v[76:77], -0.5, v[20:21]
	v_add_f64_e32 v[18:19], v[93:94], v[54:55]
	v_fma_f64 v[78:79], v[78:79], -0.5, v[22:23]
	v_add_f64_e32 v[20:21], v[95:96], v[36:37]
	v_fma_f64 v[80:81], v[80:81], -0.5, v[12:13]
	v_add_f64_e32 v[12:13], v[84:85], v[56:57]
	v_fma_f64 v[82:83], v[82:83], -0.5, v[14:15]
	v_add_f64_e32 v[14:15], v[42:43], v[58:59]
	v_add_f64_e32 v[22:23], v[97:98], v[38:39]
	;; [unrolled: 1-line block ×4, first 2 shown]
	v_fma_f64 v[28:29], v[86:87], s[2:3], v[61:62]
	s_wait_alu 0xfffe
	v_fma_f64 v[32:33], v[86:87], s[6:7], v[61:62]
	v_fma_f64 v[30:31], v[40:41], s[6:7], v[70:71]
	;; [unrolled: 1-line block ×15, first 2 shown]
	v_and_b32_e32 v61, 0xffff, v63
	v_lshlrev_b32_e32 v71, 4, v122
	v_mul_u32_u24_e32 v62, 0x9c0, v119
	v_lshlrev_b32_e32 v72, 4, v123
	v_mul_u32_u24_e32 v63, 0x9c0, v120
	v_mul_u32_u24_e32 v61, 0x9c0, v61
	;; [unrolled: 1-line block ×3, first 2 shown]
	v_lshlrev_b32_e32 v73, 4, v124
	v_lshlrev_b32_e32 v74, 4, v125
	v_add3_u32 v62, 0, v62, v72
	v_add3_u32 v61, 0, v61, v71
	s_delay_alu instid0(VALU_DEP_4) | instskip(NEXT) | instid1(VALU_DEP_4)
	v_add3_u32 v63, 0, v63, v73
	v_add3_u32 v70, 0, v70, v74
	ds_store_b128 v61, v[12:15]
	ds_store_b128 v61, v[28:31] offset:832
	ds_store_b128 v61, v[32:35] offset:1664
	ds_store_b128 v62, v[16:19]
	ds_store_b128 v62, v[36:39] offset:832
	ds_store_b128 v62, v[40:43] offset:1664
	;; [unrolled: 3-line block ×4, first 2 shown]
	s_and_saveexec_b32 s1, s0
	s_cbranch_execz .LBB0_21
; %bb.20:
	v_and_b32_e32 v12, 0xffff, v92
	s_delay_alu instid0(VALU_DEP_1) | instskip(NEXT) | instid1(VALU_DEP_1)
	v_mul_u32_u24_e32 v12, 0x4ec5, v12
	v_lshrrev_b32_e32 v12, 20, v12
	s_delay_alu instid0(VALU_DEP_1) | instskip(NEXT) | instid1(VALU_DEP_1)
	v_mul_lo_u16 v12, v12, 52
	v_sub_nc_u16 v12, v92, v12
	s_delay_alu instid0(VALU_DEP_1) | instskip(NEXT) | instid1(VALU_DEP_1)
	v_and_b32_e32 v24, 0xffff, v12
	v_lshlrev_b32_e32 v16, 5, v24
	s_clause 0x1
	global_load_b128 v[12:15], v16, s[4:5] offset:624
	global_load_b128 v[16:19], v16, s[4:5] offset:640
	s_wait_loadcnt 0x1
	v_mul_f64_e32 v[20:21], v[8:9], v[14:15]
	s_wait_loadcnt 0x0
	v_mul_f64_e32 v[22:23], v[4:5], v[18:19]
	v_mul_f64_e32 v[14:15], v[10:11], v[14:15]
	;; [unrolled: 1-line block ×3, first 2 shown]
	s_delay_alu instid0(VALU_DEP_4) | instskip(NEXT) | instid1(VALU_DEP_4)
	v_fma_f64 v[10:11], v[10:11], v[12:13], -v[20:21]
	v_fma_f64 v[6:7], v[6:7], v[16:17], -v[22:23]
	s_delay_alu instid0(VALU_DEP_4) | instskip(NEXT) | instid1(VALU_DEP_4)
	v_fma_f64 v[8:9], v[8:9], v[12:13], v[14:15]
	v_fma_f64 v[4:5], v[4:5], v[16:17], v[18:19]
	s_delay_alu instid0(VALU_DEP_4) | instskip(NEXT) | instid1(VALU_DEP_4)
	v_add_f64_e32 v[18:19], v[2:3], v[10:11]
	v_add_f64_e32 v[12:13], v[10:11], v[6:7]
	v_add_f64_e64 v[20:21], v[10:11], -v[6:7]
	s_delay_alu instid0(VALU_DEP_4)
	v_add_f64_e32 v[14:15], v[8:9], v[4:5]
	v_add_f64_e64 v[16:17], v[8:9], -v[4:5]
	v_add_f64_e32 v[8:9], v[0:1], v[8:9]
	v_fma_f64 v[12:13], v[12:13], -0.5, v[2:3]
	v_add_f64_e32 v[2:3], v[18:19], v[6:7]
	v_fma_f64 v[14:15], v[14:15], -0.5, v[0:1]
	s_delay_alu instid0(VALU_DEP_4) | instskip(NEXT) | instid1(VALU_DEP_4)
	v_add_f64_e32 v[0:1], v[8:9], v[4:5]
	v_fma_f64 v[10:11], v[16:17], s[6:7], v[12:13]
	v_fma_f64 v[6:7], v[16:17], s[2:3], v[12:13]
	s_delay_alu instid0(VALU_DEP_4)
	v_fma_f64 v[8:9], v[20:21], s[2:3], v[14:15]
	v_fma_f64 v[4:5], v[20:21], s[6:7], v[14:15]
	v_lshl_add_u32 v12, v24, 4, 0
	ds_store_b128 v12, v[0:3] offset:29952
	ds_store_b128 v12, v[8:11] offset:30784
	;; [unrolled: 1-line block ×3, first 2 shown]
.LBB0_21:
	s_wait_alu 0xfffe
	s_or_b32 exec_lo, exec_lo, s1
	global_wb scope:SCOPE_SE
	s_wait_dscnt 0x0
	s_barrier_signal -1
	s_barrier_wait -1
	global_inv scope:SCOPE_SE
	s_and_saveexec_b32 s0, vcc_lo
	s_cbranch_execz .LBB0_23
; %bb.22:
	v_mul_u32_u24_e32 v0, 12, v91
	s_mov_b32 s14, 0x42a4c3d2
	s_mov_b32 s0, 0xe00740e9
	;; [unrolled: 1-line block ×4, first 2 shown]
	v_lshlrev_b32_e32 v28, 4, v0
	s_mov_b32 s25, 0xbfea55e2
	s_wait_alu 0xfffe
	s_mov_b32 s24, s14
	s_mov_b32 s2, 0x1ea71119
	;; [unrolled: 1-line block ×3, first 2 shown]
	s_clause 0x4
	global_load_b128 v[16:19], v28, s[4:5] offset:2304
	global_load_b128 v[12:15], v28, s[4:5] offset:2448
	;; [unrolled: 1-line block ×5, first 2 shown]
	ds_load_b128 v[20:23], v69
	ds_load_b128 v[24:27], v66 offset:27456
	ds_load_b128 v[30:33], v66 offset:24960
	global_load_b128 v[42:45], v28, s[4:5] offset:2368
	s_mov_b32 s16, 0x66966769
	s_mov_b32 s17, 0x3fefc445
	s_mov_b32 s27, 0xbfefc445
	s_wait_alu 0xfffe
	s_mov_b32 s26, s16
	s_mov_b32 s18, 0x2ef20147
	;; [unrolled: 1-line block ×10, first 2 shown]
	s_wait_alu 0xfffe
	s_mov_b32 s28, s20
	s_mov_b32 s31, 0x3fedeba7
	;; [unrolled: 1-line block ×3, first 2 shown]
	v_add_nc_u32_e32 v145, 0x1d4, v90
	v_add_nc_u32_e32 v181, 0x30c, v90
	;; [unrolled: 1-line block ×5, first 2 shown]
	s_wait_loadcnt_dscnt 0x502
	v_mul_f64_e32 v[34:35], v[18:19], v[22:23]
	v_mul_f64_e32 v[36:37], v[20:21], v[18:19]
	s_delay_alu instid0(VALU_DEP_2) | instskip(NEXT) | instid1(VALU_DEP_2)
	v_fma_f64 v[18:19], v[16:17], v[20:21], v[34:35]
	v_fma_f64 v[16:17], v[16:17], v[22:23], -v[36:37]
	s_wait_loadcnt_dscnt 0x401
	v_mul_f64_e32 v[34:35], v[14:15], v[26:27]
	v_mul_f64_e32 v[36:37], v[24:25], v[14:15]
	ds_load_b128 v[20:23], v68
	v_fma_f64 v[14:15], v[12:13], v[24:25], v[34:35]
	v_fma_f64 v[12:13], v[12:13], v[26:27], -v[36:37]
	ds_load_b128 v[24:27], v66 offset:29952
	s_wait_loadcnt_dscnt 0x301
	v_mul_f64_e32 v[34:35], v[10:11], v[22:23]
	v_mul_f64_e32 v[36:37], v[20:21], v[10:11]
	s_delay_alu instid0(VALU_DEP_2) | instskip(SKIP_3) | instid1(VALU_DEP_4)
	v_fma_f64 v[10:11], v[8:9], v[20:21], v[34:35]
	s_wait_loadcnt_dscnt 0x200
	v_mul_f64_e32 v[20:21], v[6:7], v[26:27]
	v_mul_f64_e32 v[6:7], v[24:25], v[6:7]
	v_fma_f64 v[8:9], v[8:9], v[22:23], -v[36:37]
	ds_load_b128 v[34:37], v66 offset:12480
	v_fma_f64 v[20:21], v[4:5], v[24:25], v[20:21]
	v_fma_f64 v[22:23], v[4:5], v[26:27], -v[6:7]
	ds_load_b128 v[4:7], v66
	s_wait_loadcnt_dscnt 0x101
	v_mul_f64_e32 v[24:25], v[2:3], v[36:37]
	v_mul_f64_e32 v[2:3], v[34:35], v[2:3]
	s_delay_alu instid0(VALU_DEP_2) | instskip(NEXT) | instid1(VALU_DEP_2)
	v_fma_f64 v[24:25], v[0:1], v[34:35], v[24:25]
	v_fma_f64 v[26:27], v[0:1], v[36:37], -v[2:3]
	global_load_b128 v[34:37], v28, s[4:5] offset:2400
	ds_load_b128 v[38:41], v66 offset:19968
	ds_load_b128 v[46:49], v66 offset:22464
	global_load_b128 v[50:53], v28, s[4:5] offset:2384
	s_wait_loadcnt_dscnt 0x101
	v_mul_f64_e32 v[0:1], v[36:37], v[40:41]
	v_mul_f64_e32 v[2:3], v[38:39], v[36:37]
	s_delay_alu instid0(VALU_DEP_2)
	v_fma_f64 v[0:1], v[34:35], v[38:39], v[0:1]
	ds_load_b128 v[36:39], v67
	ds_load_b128 v[54:57], v60 offset:9984
	s_clause 0x1
	global_load_b128 v[58:61], v28, s[4:5] offset:2320
	global_load_b128 v[67:70], v28, s[4:5] offset:2336
	v_fma_f64 v[34:35], v[34:35], v[40:41], -v[2:3]
	s_wait_loadcnt_dscnt 0x101
	v_mul_f64_e32 v[2:3], v[60:61], v[38:39]
	s_delay_alu instid0(VALU_DEP_1) | instskip(SKIP_1) | instid1(VALU_DEP_1)
	v_fma_f64 v[2:3], v[58:59], v[36:37], v[2:3]
	v_mul_f64_e32 v[36:37], v[36:37], v[60:61]
	v_fma_f64 v[36:37], v[58:59], v[38:39], -v[36:37]
	s_clause 0x1
	global_load_b128 v[38:41], v28, s[4:5] offset:2432
	global_load_b128 v[58:61], v28, s[4:5] offset:2416
	s_mov_b32 s5, 0x3fddbe06
	s_mov_b32 s4, 0x4267c47c
	s_wait_loadcnt 0x1
	v_mul_f64_e32 v[28:29], v[40:41], v[32:33]
	s_delay_alu instid0(VALU_DEP_1) | instskip(SKIP_3) | instid1(VALU_DEP_2)
	v_fma_f64 v[28:29], v[38:39], v[30:31], v[28:29]
	v_mul_f64_e32 v[30:31], v[30:31], v[40:41]
	s_wait_loadcnt 0x0
	v_mul_f64_e32 v[40:41], v[46:47], v[60:61]
	v_fma_f64 v[38:39], v[38:39], v[32:33], -v[30:31]
	s_wait_dscnt 0x0
	v_mul_f64_e32 v[32:33], v[54:55], v[69:70]
	v_mul_f64_e32 v[30:31], v[69:70], v[56:57]
	s_delay_alu instid0(VALU_DEP_2) | instskip(SKIP_1) | instid1(VALU_DEP_3)
	v_fma_f64 v[62:63], v[67:68], v[56:57], -v[32:33]
	v_mul_f64_e32 v[32:33], v[60:61], v[48:49]
	v_fma_f64 v[30:31], v[67:68], v[54:55], v[30:31]
	s_delay_alu instid0(VALU_DEP_2)
	v_fma_f64 v[32:33], v[58:59], v[46:47], v[32:33]
	v_fma_f64 v[58:59], v[58:59], v[48:49], -v[40:41]
	ds_load_b128 v[46:49], v66 offset:14976
	ds_load_b128 v[54:57], v66 offset:17472
	s_wait_dscnt 0x1
	v_mul_f64_e32 v[40:41], v[44:45], v[48:49]
	v_mul_f64_e32 v[44:45], v[46:47], v[44:45]
	s_delay_alu instid0(VALU_DEP_2) | instskip(NEXT) | instid1(VALU_DEP_2)
	v_fma_f64 v[40:41], v[42:43], v[46:47], v[40:41]
	v_fma_f64 v[48:49], v[42:43], v[48:49], -v[44:45]
	s_wait_dscnt 0x0
	v_mul_f64_e32 v[42:43], v[52:53], v[56:57]
	v_add_f64_e32 v[44:45], v[10:11], v[4:5]
	s_delay_alu instid0(VALU_DEP_2) | instskip(SKIP_1) | instid1(VALU_DEP_3)
	v_fma_f64 v[60:61], v[50:51], v[54:55], v[42:43]
	v_mul_f64_e32 v[42:43], v[54:55], v[52:53]
	v_add_f64_e32 v[44:45], v[18:19], v[44:45]
	v_mad_co_u64_u32 v[52:53], null, s8, v90, 0
	v_add_f64_e64 v[54:55], v[18:19], -v[14:15]
	v_add_f64_e32 v[18:19], v[18:19], v[14:15]
	v_fma_f64 v[50:51], v[50:51], v[56:57], -v[42:43]
	v_add_f64_e32 v[42:43], v[6:7], v[8:9]
	v_add_f64_e32 v[44:45], v[2:3], v[44:45]
	v_add_f64_e64 v[56:57], v[2:3], -v[28:29]
	v_mul_f64_e32 v[80:81], s[24:25], v[54:55]
	s_delay_alu instid0(VALU_DEP_4) | instskip(NEXT) | instid1(VALU_DEP_4)
	v_add_f64_e32 v[42:43], v[16:17], v[42:43]
	v_add_f64_e32 v[44:45], v[30:31], v[44:45]
	s_delay_alu instid0(VALU_DEP_4) | instskip(NEXT) | instid1(VALU_DEP_3)
	v_mul_f64_e32 v[66:67], s[4:5], v[56:57]
	v_add_f64_e32 v[42:43], v[36:37], v[42:43]
	s_delay_alu instid0(VALU_DEP_3) | instskip(NEXT) | instid1(VALU_DEP_2)
	v_add_f64_e32 v[44:45], v[24:25], v[44:45]
	v_add_f64_e32 v[42:43], v[62:63], v[42:43]
	s_delay_alu instid0(VALU_DEP_2) | instskip(NEXT) | instid1(VALU_DEP_2)
	v_add_f64_e32 v[44:45], v[40:41], v[44:45]
	v_add_f64_e32 v[42:43], v[26:27], v[42:43]
	s_delay_alu instid0(VALU_DEP_2) | instskip(NEXT) | instid1(VALU_DEP_2)
	;; [unrolled: 3-line block ×4, first 2 shown]
	v_add_f64_e32 v[44:45], v[32:33], v[44:45]
	v_add_f64_e32 v[42:43], v[34:35], v[42:43]
	s_delay_alu instid0(VALU_DEP_2) | instskip(SKIP_1) | instid1(VALU_DEP_3)
	v_add_f64_e32 v[44:45], v[28:29], v[44:45]
	v_add_f64_e32 v[28:29], v[2:3], v[28:29]
	v_add_f64_e32 v[42:43], v[58:59], v[42:43]
	s_delay_alu instid0(VALU_DEP_3)
	v_add_f64_e32 v[44:45], v[14:15], v[44:45]
	v_add_f64_e64 v[14:15], v[48:49], -v[50:51]
	v_add_f64_e32 v[48:49], v[48:49], v[50:51]
	v_add_f64_e64 v[50:51], v[40:41], -v[60:61]
	v_add_f64_e32 v[40:41], v[40:41], v[60:61]
	v_add_f64_e32 v[42:43], v[38:39], v[42:43]
	v_add_f64_e32 v[44:45], v[20:21], v[44:45]
	v_mul_f64_e32 v[76:77], s[4:5], v[14:15]
	v_mul_f64_e32 v[103:104], s[22:23], v[14:15]
	v_mul_f64_e32 v[74:75], s[4:5], v[50:51]
	v_mul_f64_e32 v[101:102], s[22:23], v[50:51]
	v_mul_f64_e32 v[141:142], s[20:21], v[50:51]
	v_mul_f64_e32 v[143:144], s[20:21], v[14:15]
	v_mul_f64_e32 v[161:162], s[14:15], v[50:51]
	v_mul_f64_e32 v[163:164], s[14:15], v[14:15]
	v_mul_f64_e32 v[177:178], s[18:19], v[50:51]
	v_mul_f64_e32 v[179:180], s[18:19], v[14:15]
	v_mul_f64_e32 v[14:15], s[16:17], v[14:15]
	v_add_f64_e32 v[42:43], v[12:13], v[42:43]
	s_delay_alu instid0(VALU_DEP_1) | instskip(SKIP_1) | instid1(VALU_DEP_1)
	v_add_f64_e32 v[46:47], v[22:23], v[42:43]
	v_mov_b32_e32 v42, v53
	v_mad_co_u64_u32 v[42:43], null, s9, v90, v[42:43]
	s_delay_alu instid0(VALU_DEP_1) | instskip(SKIP_3) | instid1(VALU_DEP_3)
	v_mov_b32_e32 v53, v42
	v_add_co_u32 v42, vcc_lo, s10, v64
	s_wait_alu 0xfffd
	v_add_co_ci_u32_e32 v43, vcc_lo, s11, v65, vcc_lo
	v_lshlrev_b64_e32 v[52:53], 4, v[52:53]
	s_mov_b32 s10, 0x93053d00
	s_mov_b32 s11, 0xbfef11f4
	s_delay_alu instid0(VALU_DEP_1) | instskip(SKIP_1) | instid1(VALU_DEP_2)
	v_add_co_u32 v52, vcc_lo, v42, v52
	s_wait_alu 0xfffd
	v_add_co_ci_u32_e32 v53, vcc_lo, v43, v53, vcc_lo
	global_store_b128 v[52:53], v[44:47], off
	v_add_f64_e64 v[44:45], v[26:27], -v[34:35]
	v_add_f64_e32 v[26:27], v[26:27], v[34:35]
	v_add_f64_e64 v[34:35], v[62:63], -v[58:59]
	v_add_f64_e32 v[46:47], v[62:63], v[58:59]
	;; [unrolled: 2-line block ×6, first 2 shown]
	v_add_f64_e64 v[12:13], v[24:25], -v[0:1]
	v_add_f64_e64 v[58:59], v[30:31], -v[32:33]
	v_add_f64_e32 v[30:31], v[30:31], v[32:33]
	v_mul_f64_e32 v[32:33], s[4:5], v[54:55]
	v_add_f64_e32 v[24:25], v[24:25], v[0:1]
	v_mul_f64_e32 v[64:65], s[4:5], v[44:45]
	v_mul_f64_e32 v[72:73], s[4:5], v[34:35]
	;; [unrolled: 1-line block ×7, first 2 shown]
	v_fma_f64 v[2:3], v[16:17], s[2:3], -v[80:81]
	v_mul_f64_e32 v[62:63], s[4:5], v[12:13]
	v_mul_f64_e32 v[70:71], s[4:5], v[58:59]
	s_mov_b32 s5, 0xbfddbe06
	v_mul_f64_e32 v[84:85], s[24:25], v[38:39]
	s_wait_alu 0xfffe
	v_mul_f64_e32 v[78:79], s[4:5], v[22:23]
	v_mul_f64_e32 v[82:83], s[4:5], v[52:53]
	s_mov_b32 s4, 0xebaa3ed8
	s_mov_b32 s5, 0x3fbedb7d
	v_mul_f64_e32 v[109:110], s[18:19], v[38:39]
	v_mul_f64_e32 v[129:130], s[22:23], v[38:39]
	;; [unrolled: 1-line block ×4, first 2 shown]
	v_fma_f64 v[86:87], v[18:19], s[2:3], v[84:85]
	v_fma_f64 v[0:1], v[8:9], s[0:1], -v[78:79]
	v_fma_f64 v[111:112], v[18:19], s[12:13], v[109:110]
	v_fma_f64 v[131:132], v[18:19], s[10:11], v[129:130]
	;; [unrolled: 1-line block ×3, first 2 shown]
	s_wait_alu 0xfffe
	v_fma_f64 v[167:168], v[18:19], s[4:5], v[38:39]
	v_add_f64_e32 v[0:1], v[6:7], v[0:1]
	s_delay_alu instid0(VALU_DEP_1) | instskip(SKIP_1) | instid1(VALU_DEP_1)
	v_add_f64_e32 v[0:1], v[2:3], v[0:1]
	v_fma_f64 v[2:3], v[10:11], s[0:1], v[82:83]
	v_add_f64_e32 v[2:3], v[4:5], v[2:3]
	s_delay_alu instid0(VALU_DEP_1) | instskip(SKIP_1) | instid1(VALU_DEP_1)
	v_add_f64_e32 v[2:3], v[86:87], v[2:3]
	v_mul_f64_e32 v[86:87], s[26:27], v[56:57]
	v_fma_f64 v[88:89], v[36:37], s[4:5], -v[86:87]
	s_delay_alu instid0(VALU_DEP_1) | instskip(SKIP_1) | instid1(VALU_DEP_1)
	v_add_f64_e32 v[0:1], v[88:89], v[0:1]
	v_mul_f64_e32 v[88:89], s[26:27], v[20:21]
	v_fma_f64 v[91:92], v[28:29], s[4:5], v[88:89]
	s_delay_alu instid0(VALU_DEP_1) | instskip(SKIP_1) | instid1(VALU_DEP_1)
	v_add_f64_e32 v[2:3], v[91:92], v[2:3]
	v_mul_f64_e32 v[91:92], s[18:19], v[58:59]
	v_fma_f64 v[93:94], v[46:47], s[12:13], -v[91:92]
	s_delay_alu instid0(VALU_DEP_1) | instskip(SKIP_1) | instid1(VALU_DEP_1)
	v_add_f64_e32 v[0:1], v[93:94], v[0:1]
	v_mul_f64_e32 v[93:94], s[18:19], v[34:35]
	v_fma_f64 v[95:96], v[30:31], s[12:13], v[93:94]
	;; [unrolled: 8-line block ×3, first 2 shown]
	s_delay_alu instid0(VALU_DEP_1) | instskip(SKIP_1) | instid1(VALU_DEP_1)
	v_add_f64_e32 v[99:100], v[99:100], v[2:3]
	v_fma_f64 v[2:3], v[48:49], s[10:11], -v[101:102]
	v_add_f64_e32 v[2:3], v[2:3], v[0:1]
	v_fma_f64 v[0:1], v[40:41], s[10:11], v[103:104]
	s_delay_alu instid0(VALU_DEP_1) | instskip(SKIP_1) | instid1(VALU_DEP_1)
	v_add_f64_e32 v[0:1], v[0:1], v[99:100]
	v_mad_co_u64_u32 v[99:100], null, s8, v105, 0
	v_mad_co_u64_u32 v[105:106], null, s9, v105, v[100:101]
	s_delay_alu instid0(VALU_DEP_1) | instskip(SKIP_1) | instid1(VALU_DEP_2)
	v_mov_b32_e32 v100, v105
	v_mul_f64_e32 v[105:106], s[18:19], v[54:55]
	v_lshlrev_b64_e32 v[99:100], 4, v[99:100]
	s_delay_alu instid0(VALU_DEP_1) | instskip(SKIP_1) | instid1(VALU_DEP_2)
	v_add_co_u32 v99, vcc_lo, v42, v99
	s_wait_alu 0xfffd
	v_add_co_ci_u32_e32 v100, vcc_lo, v43, v100, vcc_lo
	global_store_b128 v[99:100], v[0:3], off
	v_mul_f64_e32 v[99:100], s[24:25], v[22:23]
	v_fma_f64 v[2:3], v[16:17], s[12:13], -v[105:106]
	s_delay_alu instid0(VALU_DEP_2) | instskip(SKIP_1) | instid1(VALU_DEP_2)
	v_fma_f64 v[0:1], v[8:9], s[2:3], -v[99:100]
	v_fma_f64 v[99:100], v[8:9], s[2:3], v[99:100]
	v_add_f64_e32 v[0:1], v[6:7], v[0:1]
	s_delay_alu instid0(VALU_DEP_2) | instskip(NEXT) | instid1(VALU_DEP_2)
	v_add_f64_e32 v[99:100], v[6:7], v[99:100]
	v_add_f64_e32 v[0:1], v[2:3], v[0:1]
	v_fma_f64 v[2:3], v[10:11], s[2:3], v[107:108]
	v_fma_f64 v[107:108], v[10:11], s[2:3], -v[107:108]
	s_delay_alu instid0(VALU_DEP_2) | instskip(NEXT) | instid1(VALU_DEP_2)
	v_add_f64_e32 v[2:3], v[4:5], v[2:3]
	v_add_f64_e32 v[107:108], v[4:5], v[107:108]
	s_delay_alu instid0(VALU_DEP_2) | instskip(SKIP_1) | instid1(VALU_DEP_1)
	v_add_f64_e32 v[2:3], v[111:112], v[2:3]
	v_mul_f64_e32 v[111:112], s[22:23], v[56:57]
	v_fma_f64 v[113:114], v[36:37], s[10:11], -v[111:112]
	s_delay_alu instid0(VALU_DEP_1) | instskip(SKIP_1) | instid1(VALU_DEP_1)
	v_add_f64_e32 v[0:1], v[113:114], v[0:1]
	v_mul_f64_e32 v[113:114], s[22:23], v[20:21]
	v_fma_f64 v[115:116], v[28:29], s[10:11], v[113:114]
	s_delay_alu instid0(VALU_DEP_1) | instskip(SKIP_1) | instid1(VALU_DEP_1)
	v_add_f64_e32 v[2:3], v[115:116], v[2:3]
	v_mul_f64_e32 v[115:116], s[28:29], v[58:59]
	v_fma_f64 v[117:118], v[46:47], s[6:7], -v[115:116]
	s_delay_alu instid0(VALU_DEP_1) | instskip(SKIP_1) | instid1(VALU_DEP_1)
	v_add_f64_e32 v[0:1], v[117:118], v[0:1]
	v_mul_f64_e32 v[117:118], s[28:29], v[34:35]
	v_fma_f64 v[119:120], v[30:31], s[6:7], v[117:118]
	s_delay_alu instid0(VALU_DEP_1) | instskip(SKIP_1) | instid1(VALU_DEP_1)
	;; [unrolled: 8-line block ×3, first 2 shown]
	v_add_f64_e32 v[123:124], v[123:124], v[2:3]
	v_fma_f64 v[2:3], v[48:49], s[0:1], -v[74:75]
	v_add_f64_e32 v[2:3], v[2:3], v[0:1]
	v_fma_f64 v[0:1], v[40:41], s[0:1], v[76:77]
	s_delay_alu instid0(VALU_DEP_1) | instskip(SKIP_1) | instid1(VALU_DEP_1)
	v_add_f64_e32 v[0:1], v[0:1], v[123:124]
	v_mad_co_u64_u32 v[123:124], null, s8, v125, 0
	v_mad_co_u64_u32 v[124:125], null, s9, v125, v[124:125]
	v_mul_f64_e32 v[125:126], s[22:23], v[54:55]
	s_delay_alu instid0(VALU_DEP_2) | instskip(NEXT) | instid1(VALU_DEP_1)
	v_lshlrev_b64_e32 v[123:124], 4, v[123:124]
	v_add_co_u32 v123, vcc_lo, v42, v123
	s_wait_alu 0xfffd
	s_delay_alu instid0(VALU_DEP_2) | instskip(SKIP_3) | instid1(VALU_DEP_2)
	v_add_co_ci_u32_e32 v124, vcc_lo, v43, v124, vcc_lo
	global_store_b128 v[123:124], v[0:3], off
	v_mul_f64_e32 v[123:124], s[26:27], v[22:23]
	v_fma_f64 v[2:3], v[16:17], s[10:11], -v[125:126]
	v_fma_f64 v[0:1], v[8:9], s[4:5], -v[123:124]
	v_fma_f64 v[123:124], v[8:9], s[4:5], v[123:124]
	s_delay_alu instid0(VALU_DEP_2) | instskip(NEXT) | instid1(VALU_DEP_2)
	v_add_f64_e32 v[0:1], v[6:7], v[0:1]
	v_add_f64_e32 v[123:124], v[6:7], v[123:124]
	s_delay_alu instid0(VALU_DEP_2) | instskip(SKIP_2) | instid1(VALU_DEP_2)
	v_add_f64_e32 v[0:1], v[2:3], v[0:1]
	v_fma_f64 v[2:3], v[10:11], s[4:5], v[127:128]
	v_fma_f64 v[127:128], v[10:11], s[4:5], -v[127:128]
	v_add_f64_e32 v[2:3], v[4:5], v[2:3]
	s_delay_alu instid0(VALU_DEP_2) | instskip(NEXT) | instid1(VALU_DEP_2)
	v_add_f64_e32 v[127:128], v[4:5], v[127:128]
	v_add_f64_e32 v[2:3], v[131:132], v[2:3]
	v_mul_f64_e32 v[131:132], s[30:31], v[56:57]
	s_delay_alu instid0(VALU_DEP_1) | instskip(NEXT) | instid1(VALU_DEP_1)
	v_fma_f64 v[133:134], v[36:37], s[12:13], -v[131:132]
	v_add_f64_e32 v[0:1], v[133:134], v[0:1]
	v_mul_f64_e32 v[133:134], s[30:31], v[20:21]
	s_delay_alu instid0(VALU_DEP_1) | instskip(NEXT) | instid1(VALU_DEP_1)
	v_fma_f64 v[135:136], v[28:29], s[12:13], v[133:134]
	v_add_f64_e32 v[2:3], v[135:136], v[2:3]
	v_fma_f64 v[135:136], v[46:47], s[0:1], -v[70:71]
	s_delay_alu instid0(VALU_DEP_1) | instskip(SKIP_1) | instid1(VALU_DEP_1)
	v_add_f64_e32 v[0:1], v[135:136], v[0:1]
	v_fma_f64 v[135:136], v[30:31], s[0:1], v[72:73]
	v_add_f64_e32 v[2:3], v[135:136], v[2:3]
	v_mul_f64_e32 v[135:136], s[24:25], v[12:13]
	s_delay_alu instid0(VALU_DEP_1) | instskip(NEXT) | instid1(VALU_DEP_1)
	v_fma_f64 v[137:138], v[26:27], s[2:3], -v[135:136]
	v_add_f64_e32 v[0:1], v[137:138], v[0:1]
	v_mul_f64_e32 v[137:138], s[24:25], v[44:45]
	s_delay_alu instid0(VALU_DEP_1) | instskip(NEXT) | instid1(VALU_DEP_1)
	v_fma_f64 v[139:140], v[24:25], s[2:3], v[137:138]
	v_add_f64_e32 v[139:140], v[139:140], v[2:3]
	v_fma_f64 v[2:3], v[48:49], s[6:7], -v[141:142]
	s_delay_alu instid0(VALU_DEP_1) | instskip(SKIP_1) | instid1(VALU_DEP_1)
	v_add_f64_e32 v[2:3], v[2:3], v[0:1]
	v_fma_f64 v[0:1], v[40:41], s[6:7], v[143:144]
	v_add_f64_e32 v[0:1], v[0:1], v[139:140]
	v_mad_co_u64_u32 v[139:140], null, s8, v145, 0
	s_delay_alu instid0(VALU_DEP_1) | instskip(NEXT) | instid1(VALU_DEP_1)
	v_mad_co_u64_u32 v[145:146], null, s9, v145, v[140:141]
	v_mov_b32_e32 v140, v145
	v_mul_f64_e32 v[145:146], s[28:29], v[54:55]
	v_mul_f64_e32 v[54:55], s[16:17], v[54:55]
	s_delay_alu instid0(VALU_DEP_3) | instskip(NEXT) | instid1(VALU_DEP_1)
	v_lshlrev_b64_e32 v[139:140], 4, v[139:140]
	v_add_co_u32 v139, vcc_lo, v42, v139
	s_wait_alu 0xfffd
	s_delay_alu instid0(VALU_DEP_2) | instskip(SKIP_3) | instid1(VALU_DEP_2)
	v_add_co_ci_u32_e32 v140, vcc_lo, v43, v140, vcc_lo
	global_store_b128 v[139:140], v[0:3], off
	v_mul_f64_e32 v[139:140], s[18:19], v[22:23]
	v_fma_f64 v[2:3], v[16:17], s[6:7], -v[145:146]
	v_fma_f64 v[0:1], v[8:9], s[12:13], -v[139:140]
	v_fma_f64 v[139:140], v[8:9], s[12:13], v[139:140]
	s_delay_alu instid0(VALU_DEP_2) | instskip(NEXT) | instid1(VALU_DEP_2)
	v_add_f64_e32 v[0:1], v[6:7], v[0:1]
	v_add_f64_e32 v[139:140], v[6:7], v[139:140]
	s_delay_alu instid0(VALU_DEP_2) | instskip(SKIP_2) | instid1(VALU_DEP_2)
	v_add_f64_e32 v[0:1], v[2:3], v[0:1]
	v_fma_f64 v[2:3], v[10:11], s[12:13], v[147:148]
	v_fma_f64 v[147:148], v[10:11], s[12:13], -v[147:148]
	v_add_f64_e32 v[2:3], v[4:5], v[2:3]
	s_delay_alu instid0(VALU_DEP_2) | instskip(NEXT) | instid1(VALU_DEP_2)
	v_add_f64_e32 v[147:148], v[4:5], v[147:148]
	v_add_f64_e32 v[2:3], v[151:152], v[2:3]
	v_fma_f64 v[151:152], v[36:37], s[0:1], -v[66:67]
	s_delay_alu instid0(VALU_DEP_1) | instskip(SKIP_1) | instid1(VALU_DEP_1)
	v_add_f64_e32 v[0:1], v[151:152], v[0:1]
	v_fma_f64 v[151:152], v[28:29], s[0:1], v[68:69]
	v_add_f64_e32 v[2:3], v[151:152], v[2:3]
	v_mul_f64_e32 v[151:152], s[26:27], v[58:59]
	s_delay_alu instid0(VALU_DEP_1) | instskip(NEXT) | instid1(VALU_DEP_1)
	v_fma_f64 v[153:154], v[46:47], s[4:5], -v[151:152]
	v_add_f64_e32 v[0:1], v[153:154], v[0:1]
	v_mul_f64_e32 v[153:154], s[26:27], v[34:35]
	s_mov_b32 s27, 0x3fcea1e5
	s_mov_b32 s26, s22
	s_delay_alu instid0(VALU_DEP_1) | instskip(NEXT) | instid1(VALU_DEP_1)
	v_fma_f64 v[155:156], v[30:31], s[4:5], v[153:154]
	v_add_f64_e32 v[2:3], v[155:156], v[2:3]
	s_wait_alu 0xfffe
	v_mul_f64_e32 v[155:156], s[26:27], v[12:13]
	v_mul_f64_e32 v[12:13], s[18:19], v[12:13]
	s_delay_alu instid0(VALU_DEP_2) | instskip(NEXT) | instid1(VALU_DEP_1)
	v_fma_f64 v[157:158], v[26:27], s[10:11], -v[155:156]
	v_add_f64_e32 v[0:1], v[157:158], v[0:1]
	v_mul_f64_e32 v[157:158], s[26:27], v[44:45]
	s_delay_alu instid0(VALU_DEP_1) | instskip(NEXT) | instid1(VALU_DEP_1)
	v_fma_f64 v[159:160], v[24:25], s[10:11], v[157:158]
	v_add_f64_e32 v[159:160], v[159:160], v[2:3]
	v_fma_f64 v[2:3], v[48:49], s[2:3], -v[161:162]
	s_delay_alu instid0(VALU_DEP_1) | instskip(SKIP_1) | instid1(VALU_DEP_1)
	v_add_f64_e32 v[2:3], v[2:3], v[0:1]
	v_fma_f64 v[0:1], v[40:41], s[2:3], v[163:164]
	v_add_f64_e32 v[0:1], v[0:1], v[159:160]
	v_mad_co_u64_u32 v[159:160], null, s8, v165, 0
	s_delay_alu instid0(VALU_DEP_1) | instskip(NEXT) | instid1(VALU_DEP_1)
	v_mad_co_u64_u32 v[165:166], null, s9, v165, v[160:161]
	v_mov_b32_e32 v160, v165
	v_mul_f64_e32 v[165:166], s[20:21], v[52:53]
	v_mul_f64_e32 v[52:53], s[22:23], v[52:53]
	s_delay_alu instid0(VALU_DEP_3) | instskip(NEXT) | instid1(VALU_DEP_1)
	v_lshlrev_b64_e32 v[159:160], 4, v[159:160]
	v_add_co_u32 v159, vcc_lo, v42, v159
	s_wait_alu 0xfffd
	s_delay_alu instid0(VALU_DEP_2) | instskip(SKIP_3) | instid1(VALU_DEP_2)
	v_add_co_ci_u32_e32 v160, vcc_lo, v43, v160, vcc_lo
	global_store_b128 v[159:160], v[0:3], off
	v_mul_f64_e32 v[159:160], s[20:21], v[22:23]
	v_fma_f64 v[2:3], v[16:17], s[4:5], -v[54:55]
	v_fma_f64 v[0:1], v[8:9], s[6:7], -v[159:160]
	s_delay_alu instid0(VALU_DEP_1) | instskip(NEXT) | instid1(VALU_DEP_1)
	v_add_f64_e32 v[0:1], v[6:7], v[0:1]
	v_add_f64_e32 v[0:1], v[2:3], v[0:1]
	v_fma_f64 v[2:3], v[10:11], s[6:7], v[165:166]
	s_delay_alu instid0(VALU_DEP_1) | instskip(NEXT) | instid1(VALU_DEP_1)
	v_add_f64_e32 v[2:3], v[4:5], v[2:3]
	v_add_f64_e32 v[2:3], v[167:168], v[2:3]
	v_mul_f64_e32 v[167:168], s[24:25], v[56:57]
	s_delay_alu instid0(VALU_DEP_1) | instskip(NEXT) | instid1(VALU_DEP_1)
	v_fma_f64 v[169:170], v[36:37], s[2:3], -v[167:168]
	v_add_f64_e32 v[0:1], v[169:170], v[0:1]
	v_mul_f64_e32 v[169:170], s[24:25], v[20:21]
	s_delay_alu instid0(VALU_DEP_1) | instskip(NEXT) | instid1(VALU_DEP_1)
	v_fma_f64 v[171:172], v[28:29], s[2:3], v[169:170]
	v_add_f64_e32 v[2:3], v[171:172], v[2:3]
	v_mul_f64_e32 v[171:172], s[26:27], v[58:59]
	s_delay_alu instid0(VALU_DEP_1) | instskip(NEXT) | instid1(VALU_DEP_1)
	v_fma_f64 v[173:174], v[46:47], s[10:11], -v[171:172]
	v_add_f64_e32 v[0:1], v[173:174], v[0:1]
	v_mul_f64_e32 v[173:174], s[26:27], v[34:35]
	s_delay_alu instid0(VALU_DEP_1) | instskip(NEXT) | instid1(VALU_DEP_1)
	v_fma_f64 v[175:176], v[30:31], s[10:11], v[173:174]
	v_add_f64_e32 v[2:3], v[175:176], v[2:3]
	v_fma_f64 v[175:176], v[26:27], s[0:1], -v[62:63]
	s_delay_alu instid0(VALU_DEP_1) | instskip(SKIP_1) | instid1(VALU_DEP_1)
	v_add_f64_e32 v[0:1], v[175:176], v[0:1]
	v_fma_f64 v[175:176], v[24:25], s[0:1], v[64:65]
	v_add_f64_e32 v[175:176], v[175:176], v[2:3]
	v_fma_f64 v[2:3], v[48:49], s[12:13], -v[177:178]
	s_delay_alu instid0(VALU_DEP_1) | instskip(SKIP_1) | instid1(VALU_DEP_1)
	v_add_f64_e32 v[2:3], v[2:3], v[0:1]
	v_fma_f64 v[0:1], v[40:41], s[12:13], v[179:180]
	v_add_f64_e32 v[0:1], v[0:1], v[175:176]
	v_mad_co_u64_u32 v[175:176], null, s8, v181, 0
	s_delay_alu instid0(VALU_DEP_1) | instskip(NEXT) | instid1(VALU_DEP_1)
	v_mad_co_u64_u32 v[181:182], null, s9, v181, v[176:177]
	v_mov_b32_e32 v176, v181
	s_delay_alu instid0(VALU_DEP_1) | instskip(NEXT) | instid1(VALU_DEP_1)
	v_lshlrev_b64_e32 v[175:176], 4, v[175:176]
	v_add_co_u32 v175, vcc_lo, v42, v175
	s_wait_alu 0xfffd
	s_delay_alu instid0(VALU_DEP_2) | instskip(SKIP_4) | instid1(VALU_DEP_3)
	v_add_co_ci_u32_e32 v176, vcc_lo, v43, v176, vcc_lo
	global_store_b128 v[175:176], v[0:3], off
	v_mul_f64_e32 v[0:1], s[22:23], v[22:23]
	v_fma_f64 v[22:23], v[8:9], s[6:7], v[159:160]
	v_fma_f64 v[159:160], v[10:11], s[6:7], -v[165:166]
	v_fma_f64 v[2:3], v[8:9], s[10:11], -v[0:1]
	v_fma_f64 v[0:1], v[8:9], s[10:11], v[0:1]
	v_fma_f64 v[8:9], v[8:9], s[0:1], v[78:79]
	;; [unrolled: 1-line block ×3, first 2 shown]
	v_fma_f64 v[52:53], v[10:11], s[10:11], -v[52:53]
	v_fma_f64 v[10:11], v[10:11], s[0:1], -v[82:83]
	v_add_f64_e32 v[159:160], v[4:5], v[159:160]
	v_add_f64_e32 v[22:23], v[6:7], v[22:23]
	;; [unrolled: 1-line block ×4, first 2 shown]
	v_fma_f64 v[0:1], v[16:17], s[0:1], -v[32:33]
	v_add_f64_e32 v[78:79], v[4:5], v[78:79]
	v_add_f64_e32 v[52:53], v[4:5], v[52:53]
	;; [unrolled: 1-line block ×3, first 2 shown]
	v_mul_f64_e32 v[4:5], s[20:21], v[56:57]
	v_add_f64_e32 v[165:166], v[6:7], v[8:9]
	v_fma_f64 v[32:33], v[16:17], s[0:1], v[32:33]
	v_fma_f64 v[56:57], v[46:47], s[6:7], v[115:116]
	v_add_f64_e32 v[0:1], v[0:1], v[2:3]
	v_fma_f64 v[2:3], v[18:19], s[0:1], v[60:61]
	v_fma_f64 v[6:7], v[36:37], s[6:7], -v[4:5]
	v_fma_f64 v[4:5], v[36:37], s[6:7], v[4:5]
	v_add_f64_e32 v[32:33], v[32:33], v[82:83]
	s_delay_alu instid0(VALU_DEP_4) | instskip(NEXT) | instid1(VALU_DEP_4)
	v_add_f64_e32 v[2:3], v[2:3], v[78:79]
	v_add_f64_e32 v[0:1], v[6:7], v[0:1]
	v_mul_f64_e32 v[6:7], s[20:21], v[20:21]
	s_delay_alu instid0(VALU_DEP_4) | instskip(SKIP_1) | instid1(VALU_DEP_3)
	v_add_f64_e32 v[4:5], v[4:5], v[32:33]
	v_fma_f64 v[32:33], v[18:19], s[10:11], -v[129:130]
	v_fma_f64 v[8:9], v[28:29], s[6:7], v[6:7]
	v_fma_f64 v[6:7], v[28:29], s[6:7], -v[6:7]
	s_delay_alu instid0(VALU_DEP_3) | instskip(NEXT) | instid1(VALU_DEP_3)
	v_add_f64_e32 v[32:33], v[32:33], v[127:128]
	v_add_f64_e32 v[2:3], v[8:9], v[2:3]
	v_mul_f64_e32 v[8:9], s[14:15], v[58:59]
	s_delay_alu instid0(VALU_DEP_1) | instskip(SKIP_1) | instid1(VALU_DEP_2)
	v_fma_f64 v[10:11], v[46:47], s[2:3], -v[8:9]
	v_fma_f64 v[8:9], v[46:47], s[2:3], v[8:9]
	v_add_f64_e32 v[0:1], v[10:11], v[0:1]
	v_mul_f64_e32 v[10:11], s[14:15], v[34:35]
	s_delay_alu instid0(VALU_DEP_3) | instskip(NEXT) | instid1(VALU_DEP_2)
	v_add_f64_e32 v[4:5], v[8:9], v[4:5]
	v_fma_f64 v[20:21], v[30:31], s[2:3], v[10:11]
	v_fma_f64 v[8:9], v[30:31], s[2:3], -v[10:11]
	v_fma_f64 v[10:11], v[40:41], s[4:5], -v[14:15]
	s_delay_alu instid0(VALU_DEP_3) | instskip(SKIP_1) | instid1(VALU_DEP_1)
	v_add_f64_e32 v[2:3], v[20:21], v[2:3]
	v_fma_f64 v[20:21], v[26:27], s[12:13], -v[12:13]
	v_add_f64_e32 v[0:1], v[20:21], v[0:1]
	v_mul_f64_e32 v[20:21], s[18:19], v[44:45]
	v_mul_f64_e32 v[44:45], s[16:17], v[50:51]
	v_fma_f64 v[50:51], v[28:29], s[12:13], -v[133:134]
	s_delay_alu instid0(VALU_DEP_3) | instskip(NEXT) | instid1(VALU_DEP_2)
	v_fma_f64 v[34:35], v[24:25], s[12:13], v[20:21]
	v_add_f64_e32 v[32:33], v[50:51], v[32:33]
	s_delay_alu instid0(VALU_DEP_2) | instskip(SKIP_1) | instid1(VALU_DEP_1)
	v_add_f64_e32 v[34:35], v[34:35], v[2:3]
	v_fma_f64 v[2:3], v[48:49], s[4:5], -v[44:45]
	v_add_f64_e32 v[2:3], v[2:3], v[0:1]
	v_fma_f64 v[0:1], v[40:41], s[4:5], v[14:15]
	v_fma_f64 v[14:15], v[40:41], s[12:13], -v[179:180]
	s_delay_alu instid0(VALU_DEP_2) | instskip(SKIP_1) | instid1(VALU_DEP_1)
	v_add_f64_e32 v[0:1], v[0:1], v[34:35]
	v_fma_f64 v[34:35], v[18:19], s[0:1], -v[60:61]
	v_add_f64_e32 v[34:35], v[34:35], v[52:53]
	v_fma_f64 v[52:53], v[28:29], s[10:11], -v[113:114]
	s_delay_alu instid0(VALU_DEP_2) | instskip(SKIP_1) | instid1(VALU_DEP_2)
	v_add_f64_e32 v[6:7], v[6:7], v[34:35]
	v_fma_f64 v[34:35], v[18:19], s[12:13], -v[109:110]
	v_add_f64_e32 v[6:7], v[8:9], v[6:7]
	v_fma_f64 v[8:9], v[26:27], s[12:13], v[12:13]
	v_fma_f64 v[12:13], v[36:37], s[2:3], v[167:168]
	s_delay_alu instid0(VALU_DEP_4) | instskip(NEXT) | instid1(VALU_DEP_3)
	v_add_f64_e32 v[34:35], v[34:35], v[107:108]
	v_add_f64_e32 v[4:5], v[8:9], v[4:5]
	v_fma_f64 v[8:9], v[24:25], s[12:13], -v[20:21]
	v_fma_f64 v[20:21], v[36:37], s[0:1], v[66:67]
	s_delay_alu instid0(VALU_DEP_4) | instskip(NEXT) | instid1(VALU_DEP_3)
	v_add_f64_e32 v[34:35], v[52:53], v[34:35]
	v_add_f64_e32 v[8:9], v[8:9], v[6:7]
	v_fma_f64 v[6:7], v[48:49], s[4:5], v[44:45]
	v_fma_f64 v[44:45], v[36:37], s[10:11], v[111:112]
	s_delay_alu instid0(VALU_DEP_2) | instskip(NEXT) | instid1(VALU_DEP_4)
	v_add_f64_e32 v[6:7], v[6:7], v[4:5]
	v_add_f64_e32 v[4:5], v[10:11], v[8:9]
	v_fma_f64 v[8:9], v[16:17], s[4:5], v[54:55]
	v_fma_f64 v[10:11], v[18:19], s[4:5], -v[38:39]
	v_fma_f64 v[38:39], v[36:37], s[12:13], v[131:132]
	v_fma_f64 v[36:37], v[36:37], s[4:5], v[86:87]
	;; [unrolled: 1-line block ×3, first 2 shown]
	v_add_f64_e32 v[8:9], v[8:9], v[22:23]
	v_add_f64_e32 v[10:11], v[10:11], v[159:160]
	v_fma_f64 v[22:23], v[40:41], s[2:3], -v[163:164]
	s_delay_alu instid0(VALU_DEP_3) | instskip(SKIP_1) | instid1(VALU_DEP_1)
	v_add_f64_e32 v[8:9], v[12:13], v[8:9]
	v_fma_f64 v[12:13], v[28:29], s[2:3], -v[169:170]
	v_add_f64_e32 v[10:11], v[12:13], v[10:11]
	v_fma_f64 v[12:13], v[46:47], s[10:11], v[171:172]
	s_delay_alu instid0(VALU_DEP_1) | instskip(SKIP_1) | instid1(VALU_DEP_1)
	v_add_f64_e32 v[8:9], v[12:13], v[8:9]
	v_fma_f64 v[12:13], v[30:31], s[10:11], -v[173:174]
	v_add_f64_e32 v[10:11], v[12:13], v[10:11]
	v_fma_f64 v[12:13], v[26:27], s[0:1], v[62:63]
	s_delay_alu instid0(VALU_DEP_1) | instskip(SKIP_1) | instid1(VALU_DEP_1)
	v_add_f64_e32 v[8:9], v[12:13], v[8:9]
	v_fma_f64 v[12:13], v[24:25], s[0:1], -v[64:65]
	v_add_f64_e32 v[12:13], v[12:13], v[10:11]
	v_fma_f64 v[10:11], v[48:49], s[12:13], v[177:178]
	s_delay_alu instid0(VALU_DEP_1) | instskip(NEXT) | instid1(VALU_DEP_3)
	v_add_f64_e32 v[10:11], v[10:11], v[8:9]
	v_add_f64_e32 v[8:9], v[14:15], v[12:13]
	v_fma_f64 v[12:13], v[16:17], s[6:7], v[145:146]
	v_fma_f64 v[14:15], v[18:19], s[6:7], -v[149:150]
	v_fma_f64 v[18:19], v[18:19], s[2:3], -v[84:85]
	s_delay_alu instid0(VALU_DEP_3) | instskip(NEXT) | instid1(VALU_DEP_3)
	v_add_f64_e32 v[12:13], v[12:13], v[139:140]
	v_add_f64_e32 v[14:15], v[14:15], v[147:148]
	s_delay_alu instid0(VALU_DEP_3) | instskip(NEXT) | instid1(VALU_DEP_3)
	v_add_f64_e32 v[18:19], v[18:19], v[175:176]
	v_add_f64_e32 v[12:13], v[20:21], v[12:13]
	v_fma_f64 v[20:21], v[28:29], s[0:1], -v[68:69]
	v_fma_f64 v[28:29], v[28:29], s[4:5], -v[88:89]
	s_delay_alu instid0(VALU_DEP_2) | instskip(SKIP_1) | instid1(VALU_DEP_3)
	v_add_f64_e32 v[14:15], v[20:21], v[14:15]
	v_fma_f64 v[20:21], v[46:47], s[4:5], v[151:152]
	v_add_f64_e32 v[18:19], v[28:29], v[18:19]
	v_fma_f64 v[28:29], v[26:27], s[2:3], v[135:136]
	v_fma_f64 v[46:47], v[46:47], s[12:13], v[91:92]
	s_delay_alu instid0(VALU_DEP_4) | instskip(SKIP_1) | instid1(VALU_DEP_1)
	v_add_f64_e32 v[12:13], v[20:21], v[12:13]
	v_fma_f64 v[20:21], v[30:31], s[4:5], -v[153:154]
	v_add_f64_e32 v[14:15], v[20:21], v[14:15]
	v_fma_f64 v[20:21], v[26:27], s[10:11], v[155:156]
	s_delay_alu instid0(VALU_DEP_1) | instskip(SKIP_1) | instid1(VALU_DEP_1)
	v_add_f64_e32 v[12:13], v[20:21], v[12:13]
	v_fma_f64 v[20:21], v[24:25], s[10:11], -v[157:158]
	v_add_f64_e32 v[20:21], v[20:21], v[14:15]
	v_fma_f64 v[14:15], v[48:49], s[2:3], v[161:162]
	s_delay_alu instid0(VALU_DEP_1) | instskip(NEXT) | instid1(VALU_DEP_3)
	v_add_f64_e32 v[14:15], v[14:15], v[12:13]
	v_add_f64_e32 v[12:13], v[22:23], v[20:21]
	v_fma_f64 v[20:21], v[16:17], s[10:11], v[125:126]
	v_fma_f64 v[22:23], v[16:17], s[12:13], v[105:106]
	;; [unrolled: 1-line block ×3, first 2 shown]
	s_delay_alu instid0(VALU_DEP_3) | instskip(NEXT) | instid1(VALU_DEP_3)
	v_add_f64_e32 v[20:21], v[20:21], v[123:124]
	v_add_f64_e32 v[22:23], v[22:23], v[99:100]
	s_delay_alu instid0(VALU_DEP_3) | instskip(NEXT) | instid1(VALU_DEP_3)
	v_add_f64_e32 v[16:17], v[16:17], v[165:166]
	v_add_f64_e32 v[20:21], v[38:39], v[20:21]
	s_delay_alu instid0(VALU_DEP_3)
	v_add_f64_e32 v[22:23], v[44:45], v[22:23]
	v_fma_f64 v[38:39], v[30:31], s[0:1], -v[72:73]
	v_fma_f64 v[44:45], v[30:31], s[6:7], -v[117:118]
	;; [unrolled: 1-line block ×3, first 2 shown]
	v_add_f64_e32 v[16:17], v[36:37], v[16:17]
	v_fma_f64 v[36:37], v[26:27], s[4:5], v[119:120]
	v_fma_f64 v[26:27], v[26:27], s[6:7], v[95:96]
	v_add_f64_e32 v[20:21], v[54:55], v[20:21]
	v_add_f64_e32 v[22:23], v[56:57], v[22:23]
	;; [unrolled: 1-line block ×4, first 2 shown]
	v_fma_f64 v[38:39], v[24:25], s[2:3], -v[137:138]
	v_fma_f64 v[44:45], v[24:25], s[4:5], -v[121:122]
	;; [unrolled: 1-line block ×3, first 2 shown]
	v_add_f64_e32 v[18:19], v[30:31], v[18:19]
	v_fma_f64 v[30:31], v[48:49], s[6:7], v[141:142]
	v_add_f64_e32 v[16:17], v[46:47], v[16:17]
	v_fma_f64 v[46:47], v[48:49], s[0:1], v[74:75]
	v_fma_f64 v[48:49], v[48:49], s[10:11], v[101:102]
	v_add_f64_e32 v[20:21], v[28:29], v[20:21]
	v_add_f64_e32 v[22:23], v[36:37], v[22:23]
	v_fma_f64 v[36:37], v[40:41], s[0:1], -v[76:77]
	v_add_f64_e32 v[28:29], v[38:39], v[32:33]
	v_add_f64_e32 v[32:33], v[44:45], v[34:35]
	v_fma_f64 v[34:35], v[40:41], s[6:7], -v[143:144]
	v_fma_f64 v[38:39], v[40:41], s[10:11], -v[103:104]
	v_add_nc_u32_e32 v41, 0x444, v90
	v_add_f64_e32 v[24:25], v[24:25], v[18:19]
	v_add_nc_u32_e32 v44, 0x4e0, v90
	v_add_f64_e32 v[26:27], v[26:27], v[16:17]
	v_add_f64_e32 v[18:19], v[30:31], v[20:21]
	v_mad_co_u64_u32 v[30:31], null, s8, v41, 0
	v_add_f64_e32 v[22:23], v[46:47], v[22:23]
	v_add_f64_e32 v[20:21], v[36:37], v[32:33]
	v_mad_co_u64_u32 v[32:33], null, s8, v44, 0
	v_add_nc_u32_e32 v40, 0x3a8, v90
	v_add_f64_e32 v[16:17], v[34:35], v[28:29]
	v_add_f64_e32 v[24:25], v[38:39], v[24:25]
	v_add_nc_u32_e32 v39, 0x57c, v90
	v_add_f64_e32 v[26:27], v[48:49], v[26:27]
	v_mad_co_u64_u32 v[28:29], null, s8, v40, 0
	s_delay_alu instid0(VALU_DEP_1) | instskip(SKIP_3) | instid1(VALU_DEP_3)
	v_mad_co_u64_u32 v[34:35], null, s9, v40, v[29:30]
	v_mov_b32_e32 v29, v33
	v_mad_co_u64_u32 v[35:36], null, s9, v41, v[31:32]
	v_add_nc_u32_e32 v41, 0x6b4, v90
	v_mad_co_u64_u32 v[36:37], null, s9, v44, v[29:30]
	v_mad_co_u64_u32 v[37:38], null, s8, v39, 0
	v_mov_b32_e32 v29, v34
	v_mov_b32_e32 v31, v35
	s_delay_alu instid0(VALU_DEP_2) | instskip(NEXT) | instid1(VALU_DEP_4)
	v_lshlrev_b64_e32 v[28:29], 4, v[28:29]
	v_mov_b32_e32 v33, v38
	s_delay_alu instid0(VALU_DEP_1)
	v_mad_co_u64_u32 v[34:35], null, s9, v39, v[33:34]
	v_add_nc_u32_e32 v39, 0x618, v90
	v_mov_b32_e32 v33, v36
	v_add_co_u32 v28, vcc_lo, v42, v28
	s_wait_alu 0xfffd
	v_add_co_ci_u32_e32 v29, vcc_lo, v43, v29, vcc_lo
	v_mad_co_u64_u32 v[35:36], null, s8, v39, 0
	v_mov_b32_e32 v38, v34
	v_lshlrev_b64_e32 v[32:33], 4, v[32:33]
	s_delay_alu instid0(VALU_DEP_2) | instskip(NEXT) | instid1(VALU_DEP_4)
	v_lshlrev_b64_e32 v[37:38], 4, v[37:38]
	v_mov_b32_e32 v34, v36
	s_delay_alu instid0(VALU_DEP_1) | instskip(NEXT) | instid1(VALU_DEP_1)
	v_mad_co_u64_u32 v[39:40], null, s9, v39, v[34:35]
	v_mov_b32_e32 v36, v39
	v_mad_co_u64_u32 v[39:40], null, s8, v41, 0
	v_lshlrev_b64_e32 v[30:31], 4, v[30:31]
	s_delay_alu instid0(VALU_DEP_2) | instskip(NEXT) | instid1(VALU_DEP_2)
	v_mov_b32_e32 v34, v40
	v_add_co_u32 v30, vcc_lo, v42, v30
	s_wait_alu 0xfffd
	s_delay_alu instid0(VALU_DEP_3) | instskip(NEXT) | instid1(VALU_DEP_3)
	v_add_co_ci_u32_e32 v31, vcc_lo, v43, v31, vcc_lo
	v_mad_co_u64_u32 v[40:41], null, s9, v41, v[34:35]
	v_add_nc_u32_e32 v41, 0x750, v90
	v_add_co_u32 v32, vcc_lo, v42, v32
	s_wait_alu 0xfffd
	v_add_co_ci_u32_e32 v33, vcc_lo, v43, v33, vcc_lo
	s_delay_alu instid0(VALU_DEP_3) | instskip(SKIP_4) | instid1(VALU_DEP_4)
	v_mad_co_u64_u32 v[44:45], null, s8, v41, 0
	v_add_co_u32 v37, vcc_lo, v42, v37
	v_lshlrev_b64_e32 v[39:40], 4, v[39:40]
	s_wait_alu 0xfffd
	v_add_co_ci_u32_e32 v38, vcc_lo, v43, v38, vcc_lo
	v_mov_b32_e32 v34, v45
	s_delay_alu instid0(VALU_DEP_1) | instskip(SKIP_1) | instid1(VALU_DEP_1)
	v_mad_co_u64_u32 v[45:46], null, s9, v41, v[34:35]
	v_lshlrev_b64_e32 v[34:35], 4, v[35:36]
	v_add_co_u32 v34, vcc_lo, v42, v34
	s_delay_alu instid0(VALU_DEP_3) | instskip(SKIP_1) | instid1(VALU_DEP_3)
	v_lshlrev_b64_e32 v[44:45], 4, v[44:45]
	s_wait_alu 0xfffd
	v_add_co_ci_u32_e32 v35, vcc_lo, v43, v35, vcc_lo
	v_add_co_u32 v39, vcc_lo, v42, v39
	s_wait_alu 0xfffd
	v_add_co_ci_u32_e32 v40, vcc_lo, v43, v40, vcc_lo
	v_add_co_u32 v41, vcc_lo, v42, v44
	s_wait_alu 0xfffd
	v_add_co_ci_u32_e32 v42, vcc_lo, v43, v45, vcc_lo
	s_clause 0x6
	global_store_b128 v[28:29], v[0:3], off
	global_store_b128 v[30:31], v[4:7], off
	;; [unrolled: 1-line block ×7, first 2 shown]
.LBB0_23:
	s_nop 0
	s_sendmsg sendmsg(MSG_DEALLOC_VGPRS)
	s_endpgm
	.section	.rodata,"a",@progbits
	.p2align	6, 0x0
	.amdhsa_kernel fft_rtc_back_len2028_factors_13_4_3_13_wgs_156_tpt_156_dp_ip_CI_sbrr_dirReg
		.amdhsa_group_segment_fixed_size 0
		.amdhsa_private_segment_fixed_size 0
		.amdhsa_kernarg_size 88
		.amdhsa_user_sgpr_count 2
		.amdhsa_user_sgpr_dispatch_ptr 0
		.amdhsa_user_sgpr_queue_ptr 0
		.amdhsa_user_sgpr_kernarg_segment_ptr 1
		.amdhsa_user_sgpr_dispatch_id 0
		.amdhsa_user_sgpr_private_segment_size 0
		.amdhsa_wavefront_size32 1
		.amdhsa_uses_dynamic_stack 0
		.amdhsa_enable_private_segment 0
		.amdhsa_system_sgpr_workgroup_id_x 1
		.amdhsa_system_sgpr_workgroup_id_y 0
		.amdhsa_system_sgpr_workgroup_id_z 0
		.amdhsa_system_sgpr_workgroup_info 0
		.amdhsa_system_vgpr_workitem_id 0
		.amdhsa_next_free_vgpr 256
		.amdhsa_next_free_sgpr 42
		.amdhsa_reserve_vcc 1
		.amdhsa_float_round_mode_32 0
		.amdhsa_float_round_mode_16_64 0
		.amdhsa_float_denorm_mode_32 3
		.amdhsa_float_denorm_mode_16_64 3
		.amdhsa_fp16_overflow 0
		.amdhsa_workgroup_processor_mode 1
		.amdhsa_memory_ordered 1
		.amdhsa_forward_progress 0
		.amdhsa_round_robin_scheduling 0
		.amdhsa_exception_fp_ieee_invalid_op 0
		.amdhsa_exception_fp_denorm_src 0
		.amdhsa_exception_fp_ieee_div_zero 0
		.amdhsa_exception_fp_ieee_overflow 0
		.amdhsa_exception_fp_ieee_underflow 0
		.amdhsa_exception_fp_ieee_inexact 0
		.amdhsa_exception_int_div_zero 0
	.end_amdhsa_kernel
	.text
.Lfunc_end0:
	.size	fft_rtc_back_len2028_factors_13_4_3_13_wgs_156_tpt_156_dp_ip_CI_sbrr_dirReg, .Lfunc_end0-fft_rtc_back_len2028_factors_13_4_3_13_wgs_156_tpt_156_dp_ip_CI_sbrr_dirReg
                                        ; -- End function
	.section	.AMDGPU.csdata,"",@progbits
; Kernel info:
; codeLenInByte = 12704
; NumSgprs: 44
; NumVgprs: 256
; ScratchSize: 0
; MemoryBound: 1
; FloatMode: 240
; IeeeMode: 1
; LDSByteSize: 0 bytes/workgroup (compile time only)
; SGPRBlocks: 5
; VGPRBlocks: 31
; NumSGPRsForWavesPerEU: 44
; NumVGPRsForWavesPerEU: 256
; Occupancy: 5
; WaveLimiterHint : 1
; COMPUTE_PGM_RSRC2:SCRATCH_EN: 0
; COMPUTE_PGM_RSRC2:USER_SGPR: 2
; COMPUTE_PGM_RSRC2:TRAP_HANDLER: 0
; COMPUTE_PGM_RSRC2:TGID_X_EN: 1
; COMPUTE_PGM_RSRC2:TGID_Y_EN: 0
; COMPUTE_PGM_RSRC2:TGID_Z_EN: 0
; COMPUTE_PGM_RSRC2:TIDIG_COMP_CNT: 0
	.text
	.p2alignl 7, 3214868480
	.fill 96, 4, 3214868480
	.type	__hip_cuid_f66e7000c72c92f3,@object ; @__hip_cuid_f66e7000c72c92f3
	.section	.bss,"aw",@nobits
	.globl	__hip_cuid_f66e7000c72c92f3
__hip_cuid_f66e7000c72c92f3:
	.byte	0                               ; 0x0
	.size	__hip_cuid_f66e7000c72c92f3, 1

	.ident	"AMD clang version 19.0.0git (https://github.com/RadeonOpenCompute/llvm-project roc-6.4.0 25133 c7fe45cf4b819c5991fe208aaa96edf142730f1d)"
	.section	".note.GNU-stack","",@progbits
	.addrsig
	.addrsig_sym __hip_cuid_f66e7000c72c92f3
	.amdgpu_metadata
---
amdhsa.kernels:
  - .args:
      - .actual_access:  read_only
        .address_space:  global
        .offset:         0
        .size:           8
        .value_kind:     global_buffer
      - .offset:         8
        .size:           8
        .value_kind:     by_value
      - .actual_access:  read_only
        .address_space:  global
        .offset:         16
        .size:           8
        .value_kind:     global_buffer
      - .actual_access:  read_only
        .address_space:  global
        .offset:         24
        .size:           8
        .value_kind:     global_buffer
      - .offset:         32
        .size:           8
        .value_kind:     by_value
      - .actual_access:  read_only
        .address_space:  global
        .offset:         40
        .size:           8
        .value_kind:     global_buffer
      - .actual_access:  read_only
        .address_space:  global
        .offset:         48
        .size:           8
        .value_kind:     global_buffer
      - .offset:         56
        .size:           4
        .value_kind:     by_value
      - .actual_access:  read_only
        .address_space:  global
        .offset:         64
        .size:           8
        .value_kind:     global_buffer
      - .actual_access:  read_only
        .address_space:  global
        .offset:         72
        .size:           8
        .value_kind:     global_buffer
      - .address_space:  global
        .offset:         80
        .size:           8
        .value_kind:     global_buffer
    .group_segment_fixed_size: 0
    .kernarg_segment_align: 8
    .kernarg_segment_size: 88
    .language:       OpenCL C
    .language_version:
      - 2
      - 0
    .max_flat_workgroup_size: 156
    .name:           fft_rtc_back_len2028_factors_13_4_3_13_wgs_156_tpt_156_dp_ip_CI_sbrr_dirReg
    .private_segment_fixed_size: 0
    .sgpr_count:     44
    .sgpr_spill_count: 0
    .symbol:         fft_rtc_back_len2028_factors_13_4_3_13_wgs_156_tpt_156_dp_ip_CI_sbrr_dirReg.kd
    .uniform_work_group_size: 1
    .uses_dynamic_stack: false
    .vgpr_count:     256
    .vgpr_spill_count: 0
    .wavefront_size: 32
    .workgroup_processor_mode: 1
amdhsa.target:   amdgcn-amd-amdhsa--gfx1201
amdhsa.version:
  - 1
  - 2
...

	.end_amdgpu_metadata
